;; amdgpu-corpus repo=ROCm/rocFFT kind=compiled arch=gfx906 opt=O3
	.text
	.amdgcn_target "amdgcn-amd-amdhsa--gfx906"
	.amdhsa_code_object_version 6
	.protected	fft_rtc_back_len3456_factors_6_6_6_4_4_wgs_144_tpt_144_halfLds_dp_ip_CI_unitstride_sbrr_C2R_dirReg ; -- Begin function fft_rtc_back_len3456_factors_6_6_6_4_4_wgs_144_tpt_144_halfLds_dp_ip_CI_unitstride_sbrr_C2R_dirReg
	.globl	fft_rtc_back_len3456_factors_6_6_6_4_4_wgs_144_tpt_144_halfLds_dp_ip_CI_unitstride_sbrr_C2R_dirReg
	.p2align	8
	.type	fft_rtc_back_len3456_factors_6_6_6_4_4_wgs_144_tpt_144_halfLds_dp_ip_CI_unitstride_sbrr_C2R_dirReg,@function
fft_rtc_back_len3456_factors_6_6_6_4_4_wgs_144_tpt_144_halfLds_dp_ip_CI_unitstride_sbrr_C2R_dirReg: ; @fft_rtc_back_len3456_factors_6_6_6_4_4_wgs_144_tpt_144_halfLds_dp_ip_CI_unitstride_sbrr_C2R_dirReg
; %bb.0:
	s_load_dwordx2 s[2:3], s[4:5], 0x50
	s_load_dwordx4 s[8:11], s[4:5], 0x0
	s_load_dwordx2 s[12:13], s[4:5], 0x18
	v_mul_u32_u24_e32 v1, 0x1c8, v0
	v_add_u32_sdwa v5, s6, v1 dst_sel:DWORD dst_unused:UNUSED_PAD src0_sel:DWORD src1_sel:WORD_1
	v_mov_b32_e32 v3, 0
	s_waitcnt lgkmcnt(0)
	v_cmp_lt_u64_e64 s[0:1], s[10:11], 2
	v_mov_b32_e32 v1, 0
	v_mov_b32_e32 v6, v3
	s_and_b64 vcc, exec, s[0:1]
	v_mov_b32_e32 v2, 0
	s_cbranch_vccnz .LBB0_8
; %bb.1:
	s_load_dwordx2 s[0:1], s[4:5], 0x10
	s_add_u32 s6, s12, 8
	s_addc_u32 s7, s13, 0
	v_mov_b32_e32 v1, 0
	v_mov_b32_e32 v2, 0
	s_waitcnt lgkmcnt(0)
	s_add_u32 s14, s0, 8
	s_addc_u32 s15, s1, 0
	s_mov_b64 s[16:17], 1
.LBB0_2:                                ; =>This Inner Loop Header: Depth=1
	s_load_dwordx2 s[18:19], s[14:15], 0x0
                                        ; implicit-def: $vgpr7_vgpr8
	s_waitcnt lgkmcnt(0)
	v_or_b32_e32 v4, s19, v6
	v_cmp_ne_u64_e32 vcc, 0, v[3:4]
	s_and_saveexec_b64 s[0:1], vcc
	s_xor_b64 s[20:21], exec, s[0:1]
	s_cbranch_execz .LBB0_4
; %bb.3:                                ;   in Loop: Header=BB0_2 Depth=1
	v_cvt_f32_u32_e32 v4, s18
	v_cvt_f32_u32_e32 v7, s19
	s_sub_u32 s0, 0, s18
	s_subb_u32 s1, 0, s19
	v_mac_f32_e32 v4, 0x4f800000, v7
	v_rcp_f32_e32 v4, v4
	v_mul_f32_e32 v4, 0x5f7ffffc, v4
	v_mul_f32_e32 v7, 0x2f800000, v4
	v_trunc_f32_e32 v7, v7
	v_mac_f32_e32 v4, 0xcf800000, v7
	v_cvt_u32_f32_e32 v7, v7
	v_cvt_u32_f32_e32 v4, v4
	v_mul_lo_u32 v8, s0, v7
	v_mul_hi_u32 v9, s0, v4
	v_mul_lo_u32 v11, s1, v4
	v_mul_lo_u32 v10, s0, v4
	v_add_u32_e32 v8, v9, v8
	v_add_u32_e32 v8, v8, v11
	v_mul_hi_u32 v9, v4, v10
	v_mul_lo_u32 v11, v4, v8
	v_mul_hi_u32 v13, v4, v8
	v_mul_hi_u32 v12, v7, v10
	v_mul_lo_u32 v10, v7, v10
	v_mul_hi_u32 v14, v7, v8
	v_add_co_u32_e32 v9, vcc, v9, v11
	v_addc_co_u32_e32 v11, vcc, 0, v13, vcc
	v_mul_lo_u32 v8, v7, v8
	v_add_co_u32_e32 v9, vcc, v9, v10
	v_addc_co_u32_e32 v9, vcc, v11, v12, vcc
	v_addc_co_u32_e32 v10, vcc, 0, v14, vcc
	v_add_co_u32_e32 v8, vcc, v9, v8
	v_addc_co_u32_e32 v9, vcc, 0, v10, vcc
	v_add_co_u32_e32 v4, vcc, v4, v8
	v_addc_co_u32_e32 v7, vcc, v7, v9, vcc
	v_mul_lo_u32 v8, s0, v7
	v_mul_hi_u32 v9, s0, v4
	v_mul_lo_u32 v10, s1, v4
	v_mul_lo_u32 v11, s0, v4
	v_add_u32_e32 v8, v9, v8
	v_add_u32_e32 v8, v8, v10
	v_mul_lo_u32 v12, v4, v8
	v_mul_hi_u32 v13, v4, v11
	v_mul_hi_u32 v14, v4, v8
	;; [unrolled: 1-line block ×3, first 2 shown]
	v_mul_lo_u32 v11, v7, v11
	v_mul_hi_u32 v9, v7, v8
	v_add_co_u32_e32 v12, vcc, v13, v12
	v_addc_co_u32_e32 v13, vcc, 0, v14, vcc
	v_mul_lo_u32 v8, v7, v8
	v_add_co_u32_e32 v11, vcc, v12, v11
	v_addc_co_u32_e32 v10, vcc, v13, v10, vcc
	v_addc_co_u32_e32 v9, vcc, 0, v9, vcc
	v_add_co_u32_e32 v8, vcc, v10, v8
	v_addc_co_u32_e32 v9, vcc, 0, v9, vcc
	v_add_co_u32_e32 v4, vcc, v4, v8
	v_addc_co_u32_e32 v9, vcc, v7, v9, vcc
	v_mad_u64_u32 v[7:8], s[0:1], v5, v9, 0
	v_mul_hi_u32 v10, v5, v4
	v_add_co_u32_e32 v11, vcc, v10, v7
	v_addc_co_u32_e32 v12, vcc, 0, v8, vcc
	v_mad_u64_u32 v[7:8], s[0:1], v6, v4, 0
	v_mad_u64_u32 v[9:10], s[0:1], v6, v9, 0
	v_add_co_u32_e32 v4, vcc, v11, v7
	v_addc_co_u32_e32 v4, vcc, v12, v8, vcc
	v_addc_co_u32_e32 v7, vcc, 0, v10, vcc
	v_add_co_u32_e32 v4, vcc, v4, v9
	v_addc_co_u32_e32 v9, vcc, 0, v7, vcc
	v_mul_lo_u32 v10, s19, v4
	v_mul_lo_u32 v11, s18, v9
	v_mad_u64_u32 v[7:8], s[0:1], s18, v4, 0
	v_add3_u32 v8, v8, v11, v10
	v_sub_u32_e32 v10, v6, v8
	v_mov_b32_e32 v11, s19
	v_sub_co_u32_e32 v7, vcc, v5, v7
	v_subb_co_u32_e64 v10, s[0:1], v10, v11, vcc
	v_subrev_co_u32_e64 v11, s[0:1], s18, v7
	v_subbrev_co_u32_e64 v10, s[0:1], 0, v10, s[0:1]
	v_cmp_le_u32_e64 s[0:1], s19, v10
	v_cndmask_b32_e64 v12, 0, -1, s[0:1]
	v_cmp_le_u32_e64 s[0:1], s18, v11
	v_cndmask_b32_e64 v11, 0, -1, s[0:1]
	v_cmp_eq_u32_e64 s[0:1], s19, v10
	v_cndmask_b32_e64 v10, v12, v11, s[0:1]
	v_add_co_u32_e64 v11, s[0:1], 2, v4
	v_addc_co_u32_e64 v12, s[0:1], 0, v9, s[0:1]
	v_add_co_u32_e64 v13, s[0:1], 1, v4
	v_addc_co_u32_e64 v14, s[0:1], 0, v9, s[0:1]
	v_subb_co_u32_e32 v8, vcc, v6, v8, vcc
	v_cmp_ne_u32_e64 s[0:1], 0, v10
	v_cmp_le_u32_e32 vcc, s19, v8
	v_cndmask_b32_e64 v10, v14, v12, s[0:1]
	v_cndmask_b32_e64 v12, 0, -1, vcc
	v_cmp_le_u32_e32 vcc, s18, v7
	v_cndmask_b32_e64 v7, 0, -1, vcc
	v_cmp_eq_u32_e32 vcc, s19, v8
	v_cndmask_b32_e32 v7, v12, v7, vcc
	v_cmp_ne_u32_e32 vcc, 0, v7
	v_cndmask_b32_e64 v7, v13, v11, s[0:1]
	v_cndmask_b32_e32 v8, v9, v10, vcc
	v_cndmask_b32_e32 v7, v4, v7, vcc
.LBB0_4:                                ;   in Loop: Header=BB0_2 Depth=1
	s_andn2_saveexec_b64 s[0:1], s[20:21]
	s_cbranch_execz .LBB0_6
; %bb.5:                                ;   in Loop: Header=BB0_2 Depth=1
	v_cvt_f32_u32_e32 v4, s18
	s_sub_i32 s20, 0, s18
	v_rcp_iflag_f32_e32 v4, v4
	v_mul_f32_e32 v4, 0x4f7ffffe, v4
	v_cvt_u32_f32_e32 v4, v4
	v_mul_lo_u32 v7, s20, v4
	v_mul_hi_u32 v7, v4, v7
	v_add_u32_e32 v4, v4, v7
	v_mul_hi_u32 v4, v5, v4
	v_mul_lo_u32 v7, v4, s18
	v_add_u32_e32 v8, 1, v4
	v_sub_u32_e32 v7, v5, v7
	v_subrev_u32_e32 v9, s18, v7
	v_cmp_le_u32_e32 vcc, s18, v7
	v_cndmask_b32_e32 v7, v7, v9, vcc
	v_cndmask_b32_e32 v4, v4, v8, vcc
	v_add_u32_e32 v8, 1, v4
	v_cmp_le_u32_e32 vcc, s18, v7
	v_cndmask_b32_e32 v7, v4, v8, vcc
	v_mov_b32_e32 v8, v3
.LBB0_6:                                ;   in Loop: Header=BB0_2 Depth=1
	s_or_b64 exec, exec, s[0:1]
	v_mul_lo_u32 v4, v8, s18
	v_mul_lo_u32 v11, v7, s19
	v_mad_u64_u32 v[9:10], s[0:1], v7, s18, 0
	s_load_dwordx2 s[0:1], s[6:7], 0x0
	s_add_u32 s16, s16, 1
	v_add3_u32 v4, v10, v11, v4
	v_sub_co_u32_e32 v5, vcc, v5, v9
	v_subb_co_u32_e32 v4, vcc, v6, v4, vcc
	s_waitcnt lgkmcnt(0)
	v_mul_lo_u32 v4, s0, v4
	v_mul_lo_u32 v6, s1, v5
	v_mad_u64_u32 v[1:2], s[0:1], s0, v5, v[1:2]
	s_addc_u32 s17, s17, 0
	s_add_u32 s6, s6, 8
	v_add3_u32 v2, v6, v2, v4
	v_mov_b32_e32 v4, s10
	v_mov_b32_e32 v5, s11
	s_addc_u32 s7, s7, 0
	v_cmp_ge_u64_e32 vcc, s[16:17], v[4:5]
	s_add_u32 s14, s14, 8
	s_addc_u32 s15, s15, 0
	s_cbranch_vccnz .LBB0_9
; %bb.7:                                ;   in Loop: Header=BB0_2 Depth=1
	v_mov_b32_e32 v5, v7
	v_mov_b32_e32 v6, v8
	s_branch .LBB0_2
.LBB0_8:
	v_mov_b32_e32 v8, v6
	v_mov_b32_e32 v7, v5
.LBB0_9:
	s_lshl_b64 s[0:1], s[10:11], 3
	s_add_u32 s0, s12, s0
	s_addc_u32 s1, s13, s1
	s_load_dwordx2 s[6:7], s[0:1], 0x0
	s_load_dwordx2 s[10:11], s[4:5], 0x20
	s_waitcnt lgkmcnt(0)
	v_mad_u64_u32 v[1:2], s[0:1], s6, v7, v[1:2]
	v_mul_lo_u32 v3, s6, v8
	v_mul_lo_u32 v4, s7, v7
	s_mov_b32 s0, 0x1c71c72
	v_mul_hi_u32 v5, v0, s0
	v_cmp_gt_u64_e64 s[0:1], s[10:11], v[7:8]
	v_add3_u32 v2, v4, v2, v3
	v_lshlrev_b64 v[58:59], 4, v[1:2]
	v_mul_u32_u24_e32 v3, 0x90, v5
	v_sub_u32_e32 v56, v0, v3
	s_and_saveexec_b64 s[4:5], s[0:1]
	s_cbranch_execz .LBB0_13
; %bb.10:
	v_mov_b32_e32 v57, 0
	v_mov_b32_e32 v0, s3
	v_add_co_u32_e32 v1, vcc, s2, v58
	v_lshlrev_b64 v[2:3], 4, v[56:57]
	v_addc_co_u32_e32 v0, vcc, v0, v59, vcc
	v_add_co_u32_e32 v54, vcc, v1, v2
	v_addc_co_u32_e32 v55, vcc, v0, v3, vcc
	v_add_co_u32_e32 v18, vcc, 0x1000, v54
	;; [unrolled: 2-line block ×8, first 2 shown]
	global_load_dwordx4 v[2:5], v[54:55], off
	global_load_dwordx4 v[6:9], v[54:55], off offset:2304
	global_load_dwordx4 v[10:13], v[18:19], off offset:512
	;; [unrolled: 1-line block ×3, first 2 shown]
	s_nop 0
	global_load_dwordx4 v[18:21], v[26:27], off offset:1024
	global_load_dwordx4 v[22:25], v[26:27], off offset:3328
	s_nop 0
	global_load_dwordx4 v[26:29], v[34:35], off offset:1536
	global_load_dwordx4 v[30:33], v[34:35], off offset:3840
	;; [unrolled: 3-line block ×4, first 2 shown]
	v_addc_co_u32_e32 v73, vcc, 0, v55, vcc
	global_load_dwordx4 v[50:53], v[64:65], off offset:3072
	global_load_dwordx4 v[60:63], v[72:73], off offset:1280
	v_or_b32_e32 v64, 0x900, v56
	v_mov_b32_e32 v65, v57
	v_lshlrev_b64 v[64:65], 4, v[64:65]
	s_movk_i32 s6, 0x8f
	v_add_co_u32_e32 v80, vcc, v1, v64
	v_addc_co_u32_e32 v81, vcc, v0, v65, vcc
	v_add_co_u32_e32 v74, vcc, 0x8000, v54
	v_addc_co_u32_e32 v75, vcc, 0, v55, vcc
	;; [unrolled: 2-line block ×6, first 2 shown]
	global_load_dwordx4 v[64:67], v[72:73], off offset:3584
	global_load_dwordx4 v[68:71], v[74:75], off offset:1792
	s_nop 0
	global_load_dwordx4 v[72:75], v[80:81], off
	global_load_dwordx4 v[76:79], v[82:83], off offset:2304
	s_nop 0
	global_load_dwordx4 v[80:83], v[88:89], off offset:512
	global_load_dwordx4 v[84:87], v[88:89], off offset:2816
	s_nop 0
	global_load_dwordx4 v[88:91], v[96:97], off offset:1024
	;; [unrolled: 3-line block ×3, first 2 shown]
	global_load_dwordx4 v[100:103], v[54:55], off offset:3840
	v_lshl_add_u32 v54, v56, 4, 0
	v_cmp_eq_u32_e32 vcc, s6, v56
	s_waitcnt vmcnt(23)
	ds_write_b128 v54, v[2:5]
	s_waitcnt vmcnt(22)
	ds_write_b128 v54, v[6:9] offset:2304
	s_waitcnt vmcnt(21)
	ds_write_b128 v54, v[10:13] offset:4608
	;; [unrolled: 2-line block ×23, first 2 shown]
	s_and_saveexec_b64 s[6:7], vcc
	s_cbranch_execz .LBB0_12
; %bb.11:
	v_add_co_u32_e32 v1, vcc, 0xd000, v1
	v_addc_co_u32_e32 v2, vcc, 0, v0, vcc
	global_load_dwordx4 v[0:3], v[1:2], off offset:2048
	v_mov_b32_e32 v56, 0x8f
	s_waitcnt vmcnt(0)
	ds_write_b128 v57, v[0:3] offset:55296
.LBB0_12:
	s_or_b64 exec, exec, s[6:7]
.LBB0_13:
	s_or_b64 exec, exec, s[4:5]
	v_lshlrev_b32_e32 v0, 4, v56
	v_add_u32_e32 v60, 0, v0
	s_waitcnt lgkmcnt(0)
	s_barrier
	v_sub_u32_e32 v10, 0, v0
	ds_read_b64 v[6:7], v60
	ds_read_b64 v[8:9], v10 offset:55296
	s_add_u32 s6, s8, 0xd7a0
	s_addc_u32 s7, s9, 0
	v_cmp_ne_u32_e32 vcc, 0, v56
                                        ; implicit-def: $vgpr4_vgpr5
	s_waitcnt lgkmcnt(0)
	v_add_f64 v[0:1], v[6:7], v[8:9]
	v_add_f64 v[2:3], v[6:7], -v[8:9]
	s_and_saveexec_b64 s[4:5], vcc
	s_xor_b64 s[4:5], exec, s[4:5]
	s_cbranch_execz .LBB0_15
; %bb.14:
	v_mov_b32_e32 v57, 0
	v_lshlrev_b64 v[0:1], 4, v[56:57]
	v_mov_b32_e32 v2, s7
	v_add_co_u32_e32 v0, vcc, s6, v0
	v_addc_co_u32_e32 v1, vcc, v2, v1, vcc
	global_load_dwordx4 v[2:5], v[0:1], off
	ds_read_b64 v[0:1], v10 offset:55304
	ds_read_b64 v[11:12], v60 offset:8
	v_add_f64 v[13:14], v[6:7], v[8:9]
	v_add_f64 v[8:9], v[6:7], -v[8:9]
	s_waitcnt lgkmcnt(0)
	v_add_f64 v[15:16], v[0:1], v[11:12]
	v_add_f64 v[0:1], v[11:12], -v[0:1]
	s_waitcnt vmcnt(0)
	v_fma_f64 v[6:7], -v[8:9], v[4:5], v[13:14]
	v_fma_f64 v[11:12], v[15:16], v[4:5], -v[0:1]
	v_fma_f64 v[13:14], v[8:9], v[4:5], v[13:14]
	v_fma_f64 v[17:18], v[15:16], v[4:5], v[0:1]
	;; [unrolled: 1-line block ×4, first 2 shown]
	v_fma_f64 v[0:1], -v[15:16], v[2:3], v[13:14]
	v_fma_f64 v[2:3], v[8:9], v[2:3], v[17:18]
	ds_write_b128 v10, v[4:7] offset:55296
	v_mov_b32_e32 v4, v56
	v_mov_b32_e32 v5, v57
.LBB0_15:
	s_andn2_saveexec_b64 s[4:5], s[4:5]
	s_cbranch_execz .LBB0_17
; %bb.16:
	v_mov_b32_e32 v8, 0
	ds_read_b128 v[4:7], v8 offset:27648
	s_waitcnt lgkmcnt(0)
	v_add_f64 v[11:12], v[4:5], v[4:5]
	v_mul_f64 v[13:14], v[6:7], -2.0
	v_mov_b32_e32 v4, 0
	v_mov_b32_e32 v5, 0
	ds_write_b128 v8, v[11:14] offset:27648
.LBB0_17:
	s_or_b64 exec, exec, s[4:5]
	v_lshlrev_b64 v[4:5], 4, v[4:5]
	v_mov_b32_e32 v6, s7
	v_add_co_u32_e32 v4, vcc, s6, v4
	v_addc_co_u32_e32 v5, vcc, v6, v5, vcc
	global_load_dwordx4 v[6:9], v[4:5], off offset:2304
	s_movk_i32 s13, 0x1000
	v_add_co_u32_e32 v19, vcc, s13, v4
	v_addc_co_u32_e32 v20, vcc, 0, v5, vcc
	global_load_dwordx4 v[11:14], v[19:20], off offset:512
	ds_write_b128 v60, v[0:3]
	ds_read_b128 v[0:3], v60 offset:2304
	ds_read_b128 v[15:18], v10 offset:52992
	global_load_dwordx4 v[19:22], v[19:20], off offset:2816
	s_movk_i32 s4, 0x2000
	s_movk_i32 s10, 0x3000
	;; [unrolled: 1-line block ×3, first 2 shown]
	s_waitcnt lgkmcnt(0)
	v_add_f64 v[23:24], v[0:1], v[15:16]
	v_add_f64 v[25:26], v[17:18], v[2:3]
	v_add_f64 v[27:28], v[0:1], -v[15:16]
	v_add_f64 v[0:1], v[2:3], -v[17:18]
	s_movk_i32 s11, 0x6000
	s_mov_b32 s6, 0xe8584caa
	s_mov_b32 s7, 0xbfebb67a
	;; [unrolled: 1-line block ×3, first 2 shown]
	v_mul_u32_u24_e32 v57, 6, v56
	v_lshl_add_u32 v57, v57, 4, 0
	s_movk_i32 s14, 0xab
	s_waitcnt vmcnt(2)
	v_fma_f64 v[2:3], v[27:28], v[8:9], v[23:24]
	v_fma_f64 v[15:16], v[25:26], v[8:9], v[0:1]
	v_fma_f64 v[17:18], -v[27:28], v[8:9], v[23:24]
	v_fma_f64 v[8:9], v[25:26], v[8:9], -v[0:1]
	v_add_co_u32_e32 v23, vcc, s4, v4
	v_addc_co_u32_e32 v24, vcc, 0, v5, vcc
	v_fma_f64 v[0:1], -v[25:26], v[6:7], v[2:3]
	v_fma_f64 v[2:3], v[27:28], v[6:7], v[15:16]
	v_fma_f64 v[15:16], v[25:26], v[6:7], v[17:18]
	;; [unrolled: 1-line block ×3, first 2 shown]
	s_movk_i32 s4, 0x4000
	ds_write_b128 v60, v[0:3] offset:2304
	ds_write_b128 v10, v[15:18] offset:52992
	ds_read_b128 v[0:3], v60 offset:4608
	ds_read_b128 v[6:9], v10 offset:50688
	global_load_dwordx4 v[15:18], v[23:24], off offset:1024
	s_waitcnt lgkmcnt(0)
	v_add_f64 v[25:26], v[0:1], v[6:7]
	v_add_f64 v[27:28], v[8:9], v[2:3]
	v_add_f64 v[29:30], v[0:1], -v[6:7]
	v_add_f64 v[0:1], v[2:3], -v[8:9]
	s_waitcnt vmcnt(2)
	v_fma_f64 v[2:3], v[29:30], v[13:14], v[25:26]
	v_fma_f64 v[6:7], v[27:28], v[13:14], v[0:1]
	v_fma_f64 v[8:9], -v[29:30], v[13:14], v[25:26]
	v_fma_f64 v[13:14], v[27:28], v[13:14], -v[0:1]
	v_fma_f64 v[0:1], -v[27:28], v[11:12], v[2:3]
	v_fma_f64 v[2:3], v[29:30], v[11:12], v[6:7]
	v_fma_f64 v[6:7], v[27:28], v[11:12], v[8:9]
	;; [unrolled: 1-line block ×3, first 2 shown]
	ds_write_b128 v60, v[0:3] offset:4608
	ds_write_b128 v10, v[6:9] offset:50688
	ds_read_b128 v[0:3], v60 offset:6912
	ds_read_b128 v[6:9], v10 offset:48384
	global_load_dwordx4 v[11:14], v[23:24], off offset:3328
	s_waitcnt lgkmcnt(0)
	v_add_f64 v[23:24], v[0:1], v[6:7]
	v_add_f64 v[25:26], v[8:9], v[2:3]
	v_add_f64 v[27:28], v[0:1], -v[6:7]
	v_add_f64 v[0:1], v[2:3], -v[8:9]
	s_waitcnt vmcnt(2)
	v_fma_f64 v[2:3], v[27:28], v[21:22], v[23:24]
	v_fma_f64 v[6:7], v[25:26], v[21:22], v[0:1]
	v_fma_f64 v[8:9], -v[27:28], v[21:22], v[23:24]
	v_fma_f64 v[21:22], v[25:26], v[21:22], -v[0:1]
	v_add_co_u32_e32 v23, vcc, s10, v4
	v_addc_co_u32_e32 v24, vcc, 0, v5, vcc
	v_fma_f64 v[0:1], -v[25:26], v[19:20], v[2:3]
	v_fma_f64 v[2:3], v[27:28], v[19:20], v[6:7]
	v_fma_f64 v[6:7], v[25:26], v[19:20], v[8:9]
	v_fma_f64 v[8:9], v[27:28], v[19:20], v[21:22]
	ds_write_b128 v60, v[0:3] offset:6912
	ds_write_b128 v10, v[6:9] offset:48384
	ds_read_b128 v[0:3], v60 offset:9216
	ds_read_b128 v[6:9], v10 offset:46080
	global_load_dwordx4 v[19:22], v[23:24], off offset:1536
	s_waitcnt lgkmcnt(0)
	v_add_f64 v[25:26], v[0:1], v[6:7]
	v_add_f64 v[27:28], v[8:9], v[2:3]
	v_add_f64 v[29:30], v[0:1], -v[6:7]
	v_add_f64 v[0:1], v[2:3], -v[8:9]
	s_waitcnt vmcnt(2)
	v_fma_f64 v[2:3], v[29:30], v[17:18], v[25:26]
	v_fma_f64 v[6:7], v[27:28], v[17:18], v[0:1]
	v_fma_f64 v[8:9], -v[29:30], v[17:18], v[25:26]
	v_fma_f64 v[17:18], v[27:28], v[17:18], -v[0:1]
	v_fma_f64 v[0:1], -v[27:28], v[15:16], v[2:3]
	v_fma_f64 v[2:3], v[29:30], v[15:16], v[6:7]
	v_fma_f64 v[6:7], v[27:28], v[15:16], v[8:9]
	;; [unrolled: 1-line block ×3, first 2 shown]
	ds_write_b128 v60, v[0:3] offset:9216
	ds_write_b128 v10, v[6:9] offset:46080
	ds_read_b128 v[0:3], v60 offset:11520
	ds_read_b128 v[6:9], v10 offset:43776
	s_waitcnt lgkmcnt(0)
	v_add_f64 v[15:16], v[0:1], v[6:7]
	v_add_f64 v[17:18], v[8:9], v[2:3]
	v_add_f64 v[25:26], v[0:1], -v[6:7]
	v_add_f64 v[6:7], v[2:3], -v[8:9]
	global_load_dwordx4 v[0:3], v[23:24], off offset:3840
	s_waitcnt vmcnt(2)
	v_fma_f64 v[8:9], v[25:26], v[13:14], v[15:16]
	v_fma_f64 v[23:24], v[17:18], v[13:14], v[6:7]
	v_fma_f64 v[15:16], -v[25:26], v[13:14], v[15:16]
	v_fma_f64 v[27:28], v[17:18], v[13:14], -v[6:7]
	v_fma_f64 v[6:7], -v[17:18], v[11:12], v[8:9]
	v_fma_f64 v[8:9], v[25:26], v[11:12], v[23:24]
	v_fma_f64 v[13:14], v[17:18], v[11:12], v[15:16]
	;; [unrolled: 1-line block ×3, first 2 shown]
	ds_write_b128 v60, v[6:9] offset:11520
	ds_write_b128 v10, v[13:16] offset:43776
	v_add_co_u32_e32 v15, vcc, s4, v4
	v_addc_co_u32_e32 v16, vcc, 0, v5, vcc
	ds_read_b128 v[6:9], v60 offset:13824
	ds_read_b128 v[11:14], v10 offset:41472
	global_load_dwordx4 v[15:18], v[15:16], off offset:2048
	s_mov_b32 s4, s6
	s_waitcnt lgkmcnt(0)
	v_add_f64 v[23:24], v[6:7], v[11:12]
	v_add_f64 v[25:26], v[13:14], v[8:9]
	v_add_f64 v[27:28], v[6:7], -v[11:12]
	v_add_f64 v[6:7], v[8:9], -v[13:14]
	s_waitcnt vmcnt(2)
	v_fma_f64 v[8:9], v[27:28], v[21:22], v[23:24]
	v_fma_f64 v[11:12], v[25:26], v[21:22], v[6:7]
	v_fma_f64 v[13:14], -v[27:28], v[21:22], v[23:24]
	v_fma_f64 v[21:22], v[25:26], v[21:22], -v[6:7]
	v_add_co_u32_e32 v23, vcc, s12, v4
	v_addc_co_u32_e32 v24, vcc, 0, v5, vcc
	v_fma_f64 v[6:7], -v[25:26], v[19:20], v[8:9]
	v_fma_f64 v[8:9], v[27:28], v[19:20], v[11:12]
	v_fma_f64 v[11:12], v[25:26], v[19:20], v[13:14]
	;; [unrolled: 1-line block ×3, first 2 shown]
	ds_write_b128 v60, v[6:9] offset:13824
	ds_write_b128 v10, v[11:14] offset:41472
	ds_read_b128 v[6:9], v60 offset:16128
	ds_read_b128 v[11:14], v10 offset:39168
	global_load_dwordx4 v[19:22], v[23:24], off offset:256
	v_add_co_u32_e32 v4, vcc, s11, v4
	v_addc_co_u32_e32 v5, vcc, 0, v5, vcc
	s_waitcnt lgkmcnt(0)
	v_add_f64 v[25:26], v[6:7], v[11:12]
	v_add_f64 v[27:28], v[13:14], v[8:9]
	v_add_f64 v[29:30], v[6:7], -v[11:12]
	v_add_f64 v[6:7], v[8:9], -v[13:14]
	s_waitcnt vmcnt(2)
	v_fma_f64 v[8:9], v[29:30], v[2:3], v[25:26]
	v_fma_f64 v[11:12], v[27:28], v[2:3], v[6:7]
	v_fma_f64 v[13:14], -v[29:30], v[2:3], v[25:26]
	v_fma_f64 v[2:3], v[27:28], v[2:3], -v[6:7]
	v_fma_f64 v[6:7], -v[27:28], v[0:1], v[8:9]
	v_fma_f64 v[8:9], v[29:30], v[0:1], v[11:12]
	v_fma_f64 v[11:12], v[27:28], v[0:1], v[13:14]
	;; [unrolled: 1-line block ×3, first 2 shown]
	ds_write_b128 v60, v[6:9] offset:16128
	ds_write_b128 v10, v[11:14] offset:39168
	ds_read_b128 v[0:3], v60 offset:18432
	ds_read_b128 v[6:9], v10 offset:36864
	global_load_dwordx4 v[11:14], v[23:24], off offset:2560
	s_waitcnt lgkmcnt(0)
	v_add_f64 v[23:24], v[0:1], v[6:7]
	v_add_f64 v[25:26], v[8:9], v[2:3]
	v_add_f64 v[27:28], v[0:1], -v[6:7]
	v_add_f64 v[0:1], v[2:3], -v[8:9]
	s_waitcnt vmcnt(2)
	v_fma_f64 v[2:3], v[27:28], v[17:18], v[23:24]
	v_fma_f64 v[6:7], v[25:26], v[17:18], v[0:1]
	v_fma_f64 v[8:9], -v[27:28], v[17:18], v[23:24]
	v_fma_f64 v[17:18], v[25:26], v[17:18], -v[0:1]
	v_fma_f64 v[0:1], -v[25:26], v[15:16], v[2:3]
	v_fma_f64 v[2:3], v[27:28], v[15:16], v[6:7]
	v_fma_f64 v[6:7], v[25:26], v[15:16], v[8:9]
	;; [unrolled: 1-line block ×3, first 2 shown]
	ds_write_b128 v60, v[0:3] offset:18432
	ds_write_b128 v10, v[6:9] offset:36864
	ds_read_b128 v[0:3], v60 offset:20736
	ds_read_b128 v[6:9], v10 offset:34560
	global_load_dwordx4 v[15:18], v[4:5], off offset:768
	s_waitcnt lgkmcnt(0)
	v_add_f64 v[4:5], v[0:1], v[6:7]
	v_add_f64 v[23:24], v[8:9], v[2:3]
	v_add_f64 v[6:7], v[0:1], -v[6:7]
	v_add_f64 v[0:1], v[2:3], -v[8:9]
	s_waitcnt vmcnt(2)
	v_fma_f64 v[2:3], v[6:7], v[21:22], v[4:5]
	v_fma_f64 v[8:9], v[23:24], v[21:22], v[0:1]
	v_fma_f64 v[4:5], -v[6:7], v[21:22], v[4:5]
	v_fma_f64 v[21:22], v[23:24], v[21:22], -v[0:1]
	v_fma_f64 v[0:1], -v[23:24], v[19:20], v[2:3]
	v_fma_f64 v[2:3], v[6:7], v[19:20], v[8:9]
	v_fma_f64 v[4:5], v[23:24], v[19:20], v[4:5]
	;; [unrolled: 1-line block ×3, first 2 shown]
	ds_write_b128 v60, v[0:3] offset:20736
	ds_write_b128 v10, v[4:7] offset:34560
	ds_read_b128 v[0:3], v60 offset:23040
	ds_read_b128 v[4:7], v10 offset:32256
	s_waitcnt lgkmcnt(0)
	v_add_f64 v[8:9], v[0:1], v[4:5]
	v_add_f64 v[19:20], v[6:7], v[2:3]
	v_add_f64 v[21:22], v[0:1], -v[4:5]
	v_add_f64 v[0:1], v[2:3], -v[6:7]
	s_waitcnt vmcnt(1)
	v_fma_f64 v[2:3], v[21:22], v[13:14], v[8:9]
	v_fma_f64 v[4:5], v[19:20], v[13:14], v[0:1]
	v_fma_f64 v[6:7], -v[21:22], v[13:14], v[8:9]
	v_fma_f64 v[8:9], v[19:20], v[13:14], -v[0:1]
	v_fma_f64 v[0:1], -v[19:20], v[11:12], v[2:3]
	v_fma_f64 v[2:3], v[21:22], v[11:12], v[4:5]
	v_fma_f64 v[4:5], v[19:20], v[11:12], v[6:7]
	;; [unrolled: 1-line block ×3, first 2 shown]
	ds_write_b128 v60, v[0:3] offset:23040
	ds_write_b128 v10, v[4:7] offset:32256
	ds_read_b128 v[0:3], v60 offset:25344
	ds_read_b128 v[4:7], v10 offset:29952
	s_waitcnt lgkmcnt(0)
	v_add_f64 v[8:9], v[0:1], v[4:5]
	v_add_f64 v[11:12], v[6:7], v[2:3]
	v_add_f64 v[13:14], v[0:1], -v[4:5]
	v_add_f64 v[0:1], v[2:3], -v[6:7]
	s_waitcnt vmcnt(0)
	v_fma_f64 v[2:3], v[13:14], v[17:18], v[8:9]
	v_fma_f64 v[4:5], v[11:12], v[17:18], v[0:1]
	v_fma_f64 v[6:7], -v[13:14], v[17:18], v[8:9]
	v_fma_f64 v[8:9], v[11:12], v[17:18], -v[0:1]
	v_fma_f64 v[0:1], -v[11:12], v[15:16], v[2:3]
	v_fma_f64 v[2:3], v[13:14], v[15:16], v[4:5]
	v_fma_f64 v[4:5], v[11:12], v[15:16], v[6:7]
	;; [unrolled: 1-line block ×3, first 2 shown]
	ds_write_b128 v60, v[0:3] offset:25344
	ds_write_b128 v10, v[4:7] offset:29952
	s_waitcnt lgkmcnt(0)
	s_barrier
	s_barrier
	ds_read_b128 v[0:3], v60
	ds_read_b128 v[4:7], v60 offset:2304
	ds_read_b128 v[8:11], v60 offset:4608
	;; [unrolled: 1-line block ×21, first 2 shown]
	s_waitcnt lgkmcnt(4)
	v_add_f64 v[93:94], v[0:1], v[73:74]
	v_add_f64 v[101:102], v[44:45], v[52:53]
	s_waitcnt lgkmcnt(2)
	v_add_f64 v[97:98], v[73:74], v[81:82]
	v_add_f64 v[103:104], v[46:47], v[54:55]
	;; [unrolled: 1-line block ×4, first 2 shown]
	v_add_f64 v[109:110], v[54:55], -v[67:68]
	v_add_f64 v[111:112], v[52:53], -v[65:66]
	v_add_f64 v[113:114], v[4:5], v[12:13]
	v_add_f64 v[115:116], v[6:7], v[14:15]
	;; [unrolled: 1-line block ×4, first 2 shown]
	v_add_f64 v[121:122], v[14:15], -v[22:23]
	v_add_f64 v[123:124], v[12:13], -v[20:21]
	ds_read_b128 v[12:15], v60 offset:48384
	ds_read_b128 v[52:55], v60 offset:50688
	v_add_f64 v[95:96], v[2:3], v[75:76]
	v_add_f64 v[99:100], v[75:76], v[83:84]
	v_add_f64 v[73:74], v[73:74], -v[81:82]
	v_add_f64 v[81:82], v[93:94], v[81:82]
	v_add_f64 v[93:94], v[28:29], v[36:37]
	v_fma_f64 v[97:98], v[97:98], -0.5, v[0:1]
	s_waitcnt lgkmcnt(1)
	v_add_f64 v[0:1], v[36:37], v[12:13]
	v_add_f64 v[75:76], v[75:76], -v[83:84]
	v_add_f64 v[83:84], v[95:96], v[83:84]
	v_add_f64 v[95:96], v[30:31], v[38:39]
	;; [unrolled: 1-line block ×4, first 2 shown]
	v_fma_f64 v[46:47], v[107:108], -0.5, v[46:47]
	v_add_f64 v[107:108], v[18:19], v[26:27]
	v_fma_f64 v[99:100], v[99:100], -0.5, v[2:3]
	v_add_f64 v[2:3], v[38:39], v[14:15]
	v_add_f64 v[36:37], v[36:37], -v[12:13]
	v_add_f64 v[65:66], v[101:102], v[65:66]
	v_add_f64 v[101:102], v[8:9], v[16:17]
	v_fma_f64 v[44:45], v[105:106], -0.5, v[44:45]
	v_add_f64 v[105:106], v[16:17], v[24:25]
	v_add_f64 v[127:128], v[16:17], -v[24:25]
	v_add_f64 v[16:17], v[113:114], v[20:21]
	v_add_f64 v[20:21], v[32:33], v[40:41]
	v_fma_f64 v[113:114], v[117:118], -0.5, v[4:5]
	v_add_f64 v[12:13], v[93:94], v[12:13]
	v_add_f64 v[93:94], v[48:49], v[61:62]
	v_fma_f64 v[117:118], v[0:1], -0.5, v[28:29]
	v_add_f64 v[28:29], v[77:78], v[85:86]
	v_add_f64 v[38:39], v[38:39], -v[14:15]
	v_add_f64 v[125:126], v[18:19], -v[26:27]
	v_add_f64 v[18:19], v[115:116], v[22:23]
	v_add_f64 v[22:23], v[34:35], v[42:43]
	v_fma_f64 v[115:116], v[119:120], -0.5, v[6:7]
	s_waitcnt lgkmcnt(0)
	v_add_f64 v[6:7], v[42:43], v[54:55]
	v_add_f64 v[14:15], v[95:96], v[14:15]
	;; [unrolled: 1-line block ×4, first 2 shown]
	v_fma_f64 v[103:104], v[107:108], -0.5, v[10:11]
	v_add_f64 v[10:11], v[87:88], v[91:92]
	v_add_f64 v[4:5], v[40:41], v[52:53]
	v_add_f64 v[40:41], v[40:41], -v[52:53]
	v_fma_f64 v[119:120], v[2:3], -0.5, v[30:31]
	v_add_f64 v[2:3], v[63:64], v[71:72]
	v_add_f64 v[24:25], v[101:102], v[24:25]
	;; [unrolled: 1-line block ×3, first 2 shown]
	v_fma_f64 v[101:102], v[105:106], -0.5, v[8:9]
	v_add_f64 v[8:9], v[85:86], v[89:90]
	v_add_f64 v[20:21], v[20:21], v[52:53]
	;; [unrolled: 1-line block ×5, first 2 shown]
	v_add_f64 v[42:43], v[42:43], -v[54:55]
	v_add_f64 v[63:64], v[63:64], -v[71:72]
	;; [unrolled: 1-line block ×3, first 2 shown]
	v_add_f64 v[22:23], v[22:23], v[54:55]
	v_fma_f64 v[34:35], v[6:7], -0.5, v[34:35]
	v_add_f64 v[54:55], v[95:96], v[71:72]
	v_fma_f64 v[71:72], v[10:11], -0.5, v[79:80]
	v_add_f64 v[61:62], v[61:62], -v[69:70]
	v_fma_f64 v[50:51], v[2:3], -0.5, v[50:51]
	v_add_f64 v[30:31], v[30:31], v[91:92]
	v_fma_f64 v[69:70], v[8:9], -0.5, v[77:78]
	v_add_f64 v[8:9], v[16:17], v[12:13]
	v_add_f64 v[12:13], v[16:17], -v[12:13]
	v_add_f64 v[16:17], v[24:25], v[20:21]
	v_add_f64 v[20:21], v[24:25], -v[20:21]
	;; [unrolled: 2-line block ×3, first 2 shown]
	v_fma_f64 v[52:53], v[111:112], s[4:5], v[46:47]
	v_fma_f64 v[46:47], v[111:112], s[6:7], v[46:47]
	v_add_f64 v[87:88], v[87:88], -v[91:92]
	v_fma_f64 v[32:33], v[4:5], -0.5, v[32:33]
	v_fma_f64 v[48:49], v[0:1], -0.5, v[48:49]
	v_fma_f64 v[77:78], v[36:37], s[4:5], v[119:120]
	v_fma_f64 v[36:37], v[36:37], s[6:7], v[119:120]
	;; [unrolled: 1-line block ×6, first 2 shown]
	v_add_f64 v[10:11], v[18:19], v[14:15]
	v_add_f64 v[14:15], v[18:19], -v[14:15]
	v_add_f64 v[18:19], v[26:27], v[22:23]
	v_add_f64 v[22:23], v[26:27], -v[22:23]
	;; [unrolled: 2-line block ×3, first 2 shown]
	v_fma_f64 v[54:55], v[109:110], s[6:7], v[44:45]
	v_fma_f64 v[107:108], v[61:62], s[4:5], v[50:51]
	;; [unrolled: 1-line block ×3, first 2 shown]
	v_mul_f64 v[50:51], v[52:53], s[6:7]
	v_mul_f64 v[52:53], v[52:53], 0.5
	v_fma_f64 v[44:45], v[109:110], s[4:5], v[44:45]
	v_mul_f64 v[61:62], v[46:47], s[6:7]
	v_mul_f64 v[46:47], v[46:47], -0.5
	v_fma_f64 v[79:80], v[38:39], s[6:7], v[117:118]
	v_fma_f64 v[95:96], v[42:43], s[6:7], v[32:33]
	;; [unrolled: 1-line block ×7, first 2 shown]
	v_mul_f64 v[63:64], v[77:78], s[6:7]
	v_mul_f64 v[69:70], v[77:78], 0.5
	v_add_f64 v[0:1], v[81:82], v[65:66]
	v_add_f64 v[2:3], v[83:84], v[67:68]
	v_add_f64 v[4:5], v[81:82], -v[65:66]
	v_add_f64 v[6:7], v[83:84], -v[67:68]
	v_fma_f64 v[81:82], v[121:122], s[6:7], v[113:114]
	v_fma_f64 v[83:84], v[123:124], s[4:5], v[115:116]
	;; [unrolled: 1-line block ×5, first 2 shown]
	v_mul_f64 v[77:78], v[36:37], s[6:7]
	v_mul_f64 v[36:37], v[36:37], -0.5
	v_mul_f64 v[85:86], v[93:94], s[6:7]
	v_mul_f64 v[87:88], v[93:94], 0.5
	v_mul_f64 v[93:94], v[34:35], s[6:7]
	v_mul_f64 v[34:35], v[34:35], -0.5
	v_mul_f64 v[113:114], v[40:41], s[6:7]
	v_mul_f64 v[40:41], v[40:41], 0.5
	v_mul_f64 v[115:116], v[71:72], s[6:7]
	v_mul_f64 v[71:72], v[71:72], -0.5
	v_fma_f64 v[65:66], v[75:76], s[6:7], v[97:98]
	v_fma_f64 v[67:68], v[73:74], s[4:5], v[99:100]
	v_fma_f64 v[50:51], v[54:55], 0.5, v[50:51]
	v_fma_f64 v[52:53], v[54:55], s[4:5], v[52:53]
	v_fma_f64 v[75:76], v[75:76], s[4:5], v[97:98]
	;; [unrolled: 1-line block ×3, first 2 shown]
	v_fma_f64 v[54:55], v[44:45], -0.5, v[61:62]
	v_fma_f64 v[46:47], v[44:45], s[4:5], v[46:47]
	v_fma_f64 v[61:62], v[79:80], 0.5, v[63:64]
	v_fma_f64 v[63:64], v[79:80], s[4:5], v[69:70]
	v_fma_f64 v[97:98], v[125:126], s[6:7], v[101:102]
	;; [unrolled: 1-line block ×5, first 2 shown]
	v_fma_f64 v[69:70], v[38:39], -0.5, v[77:78]
	v_fma_f64 v[77:78], v[38:39], s[4:5], v[36:37]
	v_fma_f64 v[79:80], v[95:96], 0.5, v[85:86]
	v_fma_f64 v[85:86], v[95:96], s[4:5], v[87:88]
	v_fma_f64 v[87:88], v[32:33], -0.5, v[93:94]
	v_fma_f64 v[93:94], v[32:33], s[4:5], v[34:35]
	v_fma_f64 v[95:96], v[42:43], 0.5, v[113:114]
	v_fma_f64 v[113:114], v[42:43], s[4:5], v[40:41]
	v_fma_f64 v[115:116], v[48:49], -0.5, v[115:116]
	v_fma_f64 v[117:118], v[48:49], s[4:5], v[71:72]
	v_add_f64 v[32:33], v[65:66], v[50:51]
	v_add_f64 v[34:35], v[67:68], v[52:53]
	;; [unrolled: 1-line block ×4, first 2 shown]
	v_add_f64 v[36:37], v[65:66], -v[50:51]
	v_add_f64 v[38:39], v[67:68], -v[52:53]
	;; [unrolled: 1-line block ×4, first 2 shown]
	v_add_f64 v[48:49], v[81:82], v[61:62]
	v_add_f64 v[50:51], v[83:84], v[63:64]
	v_add_f64 v[52:53], v[81:82], -v[61:62]
	v_add_f64 v[54:55], v[83:84], -v[63:64]
	v_add_f64 v[61:62], v[89:90], v[69:70]
	v_add_f64 v[63:64], v[91:92], v[77:78]
	v_add_f64 v[65:66], v[89:90], -v[69:70]
	v_add_f64 v[67:68], v[91:92], -v[77:78]
	;; [unrolled: 4-line block ×6, first 2 shown]
	s_barrier
	ds_write_b128 v57, v[0:3]
	ds_write_b128 v57, v[32:35] offset:16
	ds_write_b128 v57, v[40:43] offset:32
	;; [unrolled: 1-line block ×23, first 2 shown]
	v_mul_lo_u16_sdwa v0, v56, s14 dst_sel:DWORD dst_unused:UNUSED_PAD src0_sel:BYTE_0 src1_sel:DWORD
	v_lshrrev_b16_e32 v68, 10, v0
	v_mul_lo_u16_e32 v0, 6, v68
	v_sub_u16_e32 v69, v56, v0
	v_mov_b32_e32 v63, 5
	v_mul_u32_u24_sdwa v0, v69, v63 dst_sel:DWORD dst_unused:UNUSED_PAD src0_sel:BYTE_0 src1_sel:DWORD
	v_lshlrev_b32_e32 v16, 4, v0
	s_waitcnt lgkmcnt(0)
	s_barrier
	global_load_dwordx4 v[0:3], v16, s[8:9]
	global_load_dwordx4 v[4:7], v16, s[8:9] offset:16
	global_load_dwordx4 v[12:15], v16, s[8:9] offset:32
	;; [unrolled: 1-line block ×3, first 2 shown]
	s_mov_b32 s14, 0xaaab
	v_add_u32_e32 v57, 0x90, v56
	v_mul_u32_u24_sdwa v17, v57, s14 dst_sel:DWORD dst_unused:UNUSED_PAD src0_sel:WORD_0 src1_sel:DWORD
	v_lshrrev_b32_e32 v66, 18, v17
	global_load_dwordx4 v[16:19], v16, s[8:9] offset:64
	v_mul_lo_u16_e32 v20, 6, v66
	v_sub_u16_e32 v67, v57, v20
	v_mul_u32_u24_e32 v20, 5, v67
	v_lshlrev_b32_e32 v36, 4, v20
	global_load_dwordx4 v[20:23], v36, s[8:9]
	global_load_dwordx4 v[24:27], v36, s[8:9] offset:16
	global_load_dwordx4 v[28:31], v36, s[8:9] offset:32
	;; [unrolled: 1-line block ×3, first 2 shown]
	v_add_u32_e32 v62, 0x120, v56
	v_mul_u32_u24_sdwa v37, v62, s14 dst_sel:DWORD dst_unused:UNUSED_PAD src0_sel:WORD_0 src1_sel:DWORD
	v_lshrrev_b32_e32 v64, 18, v37
	v_mul_lo_u16_e32 v37, 6, v64
	v_sub_u16_e32 v65, v62, v37
	global_load_dwordx4 v[36:39], v36, s[8:9] offset:64
	v_mul_u32_u24_e32 v40, 5, v65
	v_lshlrev_b32_e32 v61, 4, v40
	global_load_dwordx4 v[40:43], v61, s[8:9]
	global_load_dwordx4 v[44:47], v61, s[8:9] offset:16
	ds_read_b128 v[70:73], v60 offset:9216
	global_load_dwordx4 v[48:51], v61, s[8:9] offset:32
	global_load_dwordx4 v[52:55], v61, s[8:9] offset:48
	ds_read_b128 v[74:77], v60 offset:18432
	ds_read_b128 v[78:81], v60 offset:16128
	;; [unrolled: 1-line block ×7, first 2 shown]
	s_waitcnt vmcnt(13) lgkmcnt(7)
	v_mul_f64 v[102:103], v[72:73], v[2:3]
	v_mul_f64 v[2:3], v[70:71], v[2:3]
	s_waitcnt vmcnt(12) lgkmcnt(6)
	v_mul_f64 v[104:105], v[76:77], v[6:7]
	v_mul_f64 v[6:7], v[74:75], v[6:7]
	;; [unrolled: 3-line block ×4, first 2 shown]
	v_fma_f64 v[102:103], v[70:71], v[0:1], v[102:103]
	v_fma_f64 v[112:113], v[72:73], v[0:1], -v[2:3]
	ds_read_b128 v[0:3], v60 offset:46080
	v_fma_f64 v[104:105], v[74:75], v[4:5], v[104:105]
	v_fma_f64 v[114:115], v[76:77], v[4:5], -v[6:7]
	v_fma_f64 v[106:107], v[82:83], v[12:13], v[106:107]
	v_fma_f64 v[116:117], v[84:85], v[12:13], -v[14:15]
	ds_read_b128 v[4:7], v60 offset:43776
	ds_read_b128 v[10:13], v60 offset:11520
	s_waitcnt vmcnt(9) lgkmcnt(2)
	v_mul_f64 v[14:15], v[2:3], v[18:19]
	v_mul_f64 v[18:19], v[0:1], v[18:19]
	ds_read_b128 v[70:73], v60 offset:13824
	ds_read_b128 v[74:77], v60 offset:20736
	v_fma_f64 v[90:91], v[90:91], v[8:9], v[108:109]
	s_waitcnt vmcnt(8) lgkmcnt(2)
	v_mul_f64 v[108:109], v[12:13], v[22:23]
	v_fma_f64 v[92:93], v[92:93], v[8:9], -v[110:111]
	v_mul_f64 v[8:9], v[10:11], v[22:23]
	s_waitcnt vmcnt(7) lgkmcnt(0)
	v_mul_f64 v[22:23], v[76:77], v[26:27]
	ds_read_b128 v[82:85], v60 offset:23040
	v_fma_f64 v[110:111], v[0:1], v[16:17], v[14:15]
	v_fma_f64 v[118:119], v[2:3], v[16:17], -v[18:19]
	ds_read_b128 v[0:3], v60 offset:29952
	v_fma_f64 v[108:109], v[10:11], v[20:21], v[108:109]
	v_mul_f64 v[16:17], v[74:75], v[26:27]
	v_fma_f64 v[120:121], v[12:13], v[20:21], -v[8:9]
	v_fma_f64 v[74:75], v[74:75], v[24:25], v[22:23]
	s_waitcnt vmcnt(6) lgkmcnt(0)
	v_mul_f64 v[20:21], v[2:3], v[30:31]
	v_mul_f64 v[22:23], v[0:1], v[30:31]
	ds_read_b128 v[8:11], v60 offset:32256
	ds_read_b128 v[12:15], v60 offset:39168
	v_fma_f64 v[76:77], v[76:77], v[24:25], -v[16:17]
	ds_read_b128 v[16:19], v60 offset:41472
	s_waitcnt vmcnt(5) lgkmcnt(1)
	v_mul_f64 v[24:25], v[14:15], v[34:35]
	v_mul_f64 v[26:27], v[12:13], v[34:35]
	v_fma_f64 v[34:35], v[0:1], v[28:29], v[20:21]
	v_fma_f64 v[122:123], v[2:3], v[28:29], -v[22:23]
	ds_read_b128 v[0:3], v60 offset:48384
	v_fma_f64 v[124:125], v[12:13], v[32:33], v[24:25]
	s_waitcnt vmcnt(4) lgkmcnt(0)
	v_mul_f64 v[20:21], v[2:3], v[38:39]
	v_mul_f64 v[22:23], v[0:1], v[38:39]
	v_fma_f64 v[32:33], v[14:15], v[32:33], -v[26:27]
	s_waitcnt vmcnt(3)
	v_mul_f64 v[24:25], v[72:73], v[42:43]
	v_mul_f64 v[26:27], v[70:71], v[42:43]
	ds_read_b128 v[12:15], v60 offset:50688
	v_fma_f64 v[38:39], v[0:1], v[36:37], v[20:21]
	v_fma_f64 v[36:37], v[2:3], v[36:37], -v[22:23]
	global_load_dwordx4 v[0:3], v61, s[8:9] offset:64
	v_add_u32_e32 v61, 0x1b0, v56
	v_mul_u32_u24_sdwa v20, v61, s14 dst_sel:DWORD dst_unused:UNUSED_PAD src0_sel:WORD_0 src1_sel:DWORD
	v_lshrrev_b32_e32 v132, 18, v20
	v_mul_lo_u16_e32 v20, 6, v132
	v_sub_u16_e32 v133, v61, v20
	v_mul_u32_u24_e32 v20, 5, v133
	v_lshlrev_b32_e32 v126, 4, v20
	global_load_dwordx4 v[20:23], v126, s[8:9]
	v_fma_f64 v[42:43], v[70:71], v[40:41], v[24:25]
	v_fma_f64 v[40:41], v[72:73], v[40:41], -v[26:27]
	s_waitcnt vmcnt(4)
	v_mul_f64 v[24:25], v[84:85], v[46:47]
	v_mul_f64 v[26:27], v[82:83], v[46:47]
	s_waitcnt vmcnt(3)
	v_mul_f64 v[46:47], v[10:11], v[50:51]
	v_mul_f64 v[50:51], v[8:9], v[50:51]
	;; [unrolled: 3-line block ×3, first 2 shown]
	s_mov_b32 s14, 0xe38f
	v_fma_f64 v[70:71], v[82:83], v[44:45], v[24:25]
	v_fma_f64 v[44:45], v[84:85], v[44:45], -v[26:27]
	global_load_dwordx4 v[24:27], v126, s[8:9] offset:16
	global_load_dwordx4 v[28:31], v126, s[8:9] offset:32
	v_fma_f64 v[46:47], v[8:9], v[48:49], v[46:47]
	v_fma_f64 v[49:50], v[10:11], v[48:49], -v[50:51]
	global_load_dwordx4 v[8:11], v126, s[8:9] offset:48
	v_fma_f64 v[72:73], v[16:17], v[52:53], v[72:73]
	v_fma_f64 v[51:52], v[18:19], v[52:53], -v[54:55]
	global_load_dwordx4 v[16:19], v126, s[8:9] offset:64
	v_mov_b32_e32 v48, 4
	s_waitcnt vmcnt(5) lgkmcnt(0)
	v_mul_f64 v[53:54], v[14:15], v[2:3]
	v_mul_f64 v[2:3], v[12:13], v[2:3]
	v_fma_f64 v[53:54], v[12:13], v[0:1], v[53:54]
	v_fma_f64 v[82:83], v[14:15], v[0:1], -v[2:3]
	s_waitcnt vmcnt(4)
	v_mul_f64 v[0:1], v[80:81], v[22:23]
	v_mul_f64 v[2:3], v[78:79], v[22:23]
	v_fma_f64 v[78:79], v[78:79], v[20:21], v[0:1]
	v_fma_f64 v[80:81], v[80:81], v[20:21], -v[2:3]
	s_waitcnt vmcnt(3)
	v_mul_f64 v[0:1], v[88:89], v[26:27]
	v_mul_f64 v[2:3], v[86:87], v[26:27]
	s_waitcnt vmcnt(2)
	v_mul_f64 v[12:13], v[96:97], v[30:31]
	v_mul_f64 v[14:15], v[94:95], v[30:31]
	s_waitcnt vmcnt(1)
	v_mul_f64 v[20:21], v[4:5], v[10:11]
	v_add_f64 v[30:31], v[104:105], -v[90:91]
	v_fma_f64 v[84:85], v[86:87], v[24:25], v[0:1]
	v_fma_f64 v[86:87], v[88:89], v[24:25], -v[2:3]
	ds_read_b128 v[0:3], v60 offset:52992
	v_fma_f64 v[88:89], v[94:95], v[28:29], v[12:13]
	v_fma_f64 v[94:95], v[96:97], v[28:29], -v[14:15]
	v_mul_f64 v[14:15], v[6:7], v[10:11]
	ds_read_b128 v[10:13], v60
	s_waitcnt vmcnt(0) lgkmcnt(1)
	v_mul_f64 v[22:23], v[2:3], v[18:19]
	v_mul_f64 v[18:19], v[0:1], v[18:19]
	v_add_f64 v[24:25], v[116:117], v[118:119]
	v_fma_f64 v[126:127], v[6:7], v[8:9], -v[20:21]
	v_add_f64 v[6:7], v[106:107], v[110:111]
	v_add_f64 v[28:29], v[114:115], -v[92:93]
	v_fma_f64 v[96:97], v[4:5], v[8:9], v[14:15]
	v_add_f64 v[8:9], v[106:107], -v[110:111]
	v_fma_f64 v[128:129], v[0:1], v[16:17], v[22:23]
	v_fma_f64 v[130:131], v[2:3], v[16:17], -v[18:19]
	v_add_f64 v[2:3], v[102:103], v[106:107]
	v_fma_f64 v[4:5], v[24:25], -0.5, v[112:113]
	s_waitcnt lgkmcnt(0)
	v_add_f64 v[0:1], v[10:11], v[104:105]
	v_add_f64 v[14:15], v[104:105], v[90:91]
	;; [unrolled: 1-line block ×3, first 2 shown]
	v_fma_f64 v[6:7], v[6:7], -0.5, v[102:103]
	v_add_f64 v[24:25], v[116:117], -v[118:119]
	v_add_f64 v[16:17], v[114:115], v[92:93]
	v_add_f64 v[22:23], v[2:3], v[110:111]
	v_fma_f64 v[2:3], v[8:9], s[4:5], v[4:5]
	v_fma_f64 v[4:5], v[8:9], s[6:7], v[4:5]
	v_add_f64 v[20:21], v[0:1], v[90:91]
	v_add_f64 v[0:1], v[112:113], v[116:117]
	v_fma_f64 v[10:11], v[14:15], -0.5, v[10:11]
	v_add_f64 v[14:15], v[18:19], v[92:93]
	v_fma_f64 v[18:19], v[24:25], s[6:7], v[6:7]
	v_fma_f64 v[6:7], v[24:25], s[4:5], v[6:7]
	v_mul_f64 v[8:9], v[2:3], s[6:7]
	v_mul_f64 v[26:27], v[2:3], 0.5
	v_mul_f64 v[24:25], v[4:5], s[6:7]
	v_fma_f64 v[12:13], v[16:17], -0.5, v[12:13]
	v_add_f64 v[16:17], v[0:1], v[118:119]
	v_mul_f64 v[4:5], v[4:5], -0.5
	v_add_f64 v[0:1], v[20:21], v[22:23]
	v_fma_f64 v[90:91], v[18:19], 0.5, v[8:9]
	v_fma_f64 v[18:19], v[18:19], s[4:5], v[26:27]
	v_fma_f64 v[26:27], v[28:29], s[6:7], v[10:11]
	;; [unrolled: 1-line block ×3, first 2 shown]
	v_fma_f64 v[24:25], v[6:7], -0.5, v[24:25]
	v_add_f64 v[2:3], v[14:15], v[16:17]
	v_fma_f64 v[92:93], v[30:31], s[4:5], v[12:13]
	v_fma_f64 v[30:31], v[30:31], s[6:7], v[12:13]
	;; [unrolled: 1-line block ×3, first 2 shown]
	v_add_f64 v[4:5], v[20:21], -v[22:23]
	v_add_f64 v[6:7], v[14:15], -v[16:17]
	v_add_f64 v[8:9], v[26:27], v[90:91]
	v_add_f64 v[16:17], v[28:29], v[24:25]
	v_add_f64 v[20:21], v[28:29], -v[24:25]
	v_mul_u32_u24_e32 v24, 0x240, v68
	v_lshlrev_b32_sdwa v25, v48, v69 dst_sel:DWORD dst_unused:UNUSED_PAD src0_sel:DWORD src1_sel:BYTE_0
	v_add3_u32 v55, 0, v24, v25
	v_add_f64 v[10:11], v[92:93], v[18:19]
	v_add_f64 v[12:13], v[26:27], -v[90:91]
	v_add_f64 v[14:15], v[92:93], -v[18:19]
	v_add_f64 v[18:19], v[30:31], v[102:103]
	v_add_f64 v[22:23], v[30:31], -v[102:103]
	ds_read_b128 v[24:27], v60 offset:2304
	ds_read_b128 v[28:31], v60 offset:4608
	s_waitcnt lgkmcnt(0)
	s_barrier
	ds_write_b128 v55, v[0:3]
	v_add_f64 v[0:1], v[122:123], v[36:37]
	ds_write_b128 v55, v[8:11] offset:96
	ds_write_b128 v55, v[16:19] offset:192
	;; [unrolled: 1-line block ×5, first 2 shown]
	v_add_f64 v[2:3], v[24:25], v[74:75]
	v_add_f64 v[8:9], v[34:35], -v[38:39]
	v_add_f64 v[4:5], v[108:109], v[34:35]
	v_add_f64 v[10:11], v[74:75], v[124:125]
	;; [unrolled: 1-line block ×4, first 2 shown]
	v_fma_f64 v[6:7], v[0:1], -0.5, v[120:121]
	v_add_f64 v[0:1], v[34:35], v[38:39]
	v_add_f64 v[16:17], v[2:3], v[124:125]
	;; [unrolled: 1-line block ×3, first 2 shown]
	v_add_f64 v[22:23], v[122:123], -v[36:37]
	v_add_f64 v[4:5], v[4:5], v[38:39]
	v_fma_f64 v[10:11], v[10:11], -0.5, v[24:25]
	v_fma_f64 v[12:13], v[12:13], -0.5, v[26:27]
	v_fma_f64 v[20:21], v[8:9], s[4:5], v[6:7]
	v_fma_f64 v[18:19], v[0:1], -0.5, v[108:109]
	v_fma_f64 v[6:7], v[8:9], s[6:7], v[6:7]
	v_add_f64 v[14:15], v[14:15], v[32:33]
	v_add_f64 v[24:25], v[2:3], v[36:37]
	v_add_f64 v[32:33], v[76:77], -v[32:33]
	v_add_f64 v[34:35], v[74:75], -v[124:125]
	v_add_f64 v[0:1], v[16:17], v[4:5]
	v_mul_f64 v[8:9], v[20:21], s[6:7]
	v_fma_f64 v[26:27], v[22:23], s[6:7], v[18:19]
	v_mul_f64 v[20:21], v[20:21], 0.5
	v_fma_f64 v[18:19], v[22:23], s[4:5], v[18:19]
	v_mul_f64 v[22:23], v[6:7], s[6:7]
	v_mul_f64 v[6:7], v[6:7], -0.5
	v_add_f64 v[2:3], v[14:15], v[24:25]
	v_fma_f64 v[38:39], v[34:35], s[4:5], v[12:13]
	v_fma_f64 v[34:35], v[34:35], s[6:7], v[12:13]
	v_fma_f64 v[36:37], v[26:27], 0.5, v[8:9]
	v_fma_f64 v[20:21], v[26:27], s[4:5], v[20:21]
	v_fma_f64 v[26:27], v[32:33], s[6:7], v[10:11]
	;; [unrolled: 1-line block ×3, first 2 shown]
	v_fma_f64 v[22:23], v[18:19], -0.5, v[22:23]
	v_fma_f64 v[68:69], v[18:19], s[4:5], v[6:7]
	v_add_f64 v[6:7], v[14:15], -v[24:25]
	v_mul_u32_u24_e32 v24, 0x240, v66
	v_lshlrev_b32_e32 v25, 4, v67
	v_add3_u32 v24, 0, v24, v25
	v_add_f64 v[8:9], v[26:27], v[36:37]
	v_add_f64 v[10:11], v[38:39], v[20:21]
	ds_write_b128 v24, v[0:3]
	v_add_f64 v[0:1], v[49:50], v[82:83]
	v_add_f64 v[4:5], v[16:17], -v[4:5]
	v_add_f64 v[16:17], v[32:33], v[22:23]
	v_add_f64 v[18:19], v[34:35], v[68:69]
	v_add_f64 v[12:13], v[26:27], -v[36:37]
	v_add_f64 v[14:15], v[38:39], -v[20:21]
	;; [unrolled: 1-line block ×4, first 2 shown]
	ds_write_b128 v24, v[8:11] offset:96
	ds_write_b128 v24, v[16:19] offset:192
	;; [unrolled: 1-line block ×4, first 2 shown]
	v_add_f64 v[2:3], v[42:43], v[46:47]
	v_fma_f64 v[6:7], v[0:1], -0.5, v[40:41]
	v_add_f64 v[0:1], v[46:47], v[53:54]
	v_add_f64 v[8:9], v[46:47], -v[53:54]
	ds_write_b128 v24, v[20:23] offset:480
	v_add_f64 v[4:5], v[28:29], v[70:71]
	v_add_f64 v[10:11], v[70:71], v[72:73]
	;; [unrolled: 1-line block ×6, first 2 shown]
	v_fma_f64 v[18:19], v[0:1], -0.5, v[42:43]
	v_fma_f64 v[20:21], v[8:9], s[4:5], v[6:7]
	v_add_f64 v[22:23], v[49:50], -v[82:83]
	v_fma_f64 v[6:7], v[8:9], s[6:7], v[6:7]
	v_add_f64 v[4:5], v[4:5], v[72:73]
	v_fma_f64 v[10:11], v[10:11], -0.5, v[28:29]
	v_fma_f64 v[12:13], v[12:13], -0.5, v[30:31]
	v_add_f64 v[24:25], v[2:3], v[51:52]
	v_add_f64 v[16:17], v[16:17], v[82:83]
	v_mul_f64 v[8:9], v[20:21], s[6:7]
	v_fma_f64 v[26:27], v[22:23], s[6:7], v[18:19]
	v_mul_f64 v[20:21], v[20:21], 0.5
	v_add_f64 v[28:29], v[44:45], -v[51:52]
	v_add_f64 v[30:31], v[70:71], -v[72:73]
	v_fma_f64 v[18:19], v[22:23], s[4:5], v[18:19]
	v_mul_f64 v[22:23], v[6:7], s[6:7]
	v_mul_f64 v[6:7], v[6:7], -0.5
	v_add_f64 v[0:1], v[4:5], v[14:15]
	v_add_f64 v[2:3], v[24:25], v[16:17]
	v_fma_f64 v[32:33], v[26:27], 0.5, v[8:9]
	v_fma_f64 v[20:21], v[26:27], s[4:5], v[20:21]
	v_fma_f64 v[26:27], v[28:29], s[6:7], v[10:11]
	;; [unrolled: 1-line block ×5, first 2 shown]
	v_fma_f64 v[22:23], v[18:19], -0.5, v[22:23]
	v_fma_f64 v[36:37], v[18:19], s[4:5], v[6:7]
	v_add_f64 v[6:7], v[24:25], -v[16:17]
	v_mul_u32_u24_e32 v24, 0x240, v64
	v_lshlrev_b32_e32 v25, 4, v65
	v_add3_u32 v24, 0, v24, v25
	v_add_f64 v[8:9], v[26:27], v[32:33]
	v_add_f64 v[10:11], v[34:35], v[20:21]
	ds_write_b128 v24, v[0:3]
	v_add_f64 v[0:1], v[94:95], v[130:131]
	v_add_f64 v[16:17], v[28:29], v[22:23]
	;; [unrolled: 1-line block ×3, first 2 shown]
	v_add_f64 v[4:5], v[4:5], -v[14:15]
	v_add_f64 v[12:13], v[26:27], -v[32:33]
	;; [unrolled: 1-line block ×5, first 2 shown]
	ds_write_b128 v24, v[8:11] offset:96
	ds_write_b128 v24, v[16:19] offset:192
	;; [unrolled: 1-line block ×5, first 2 shown]
	v_fma_f64 v[6:7], v[0:1], -0.5, v[80:81]
	v_add_f64 v[0:1], v[88:89], v[128:129]
	v_add_f64 v[8:9], v[88:89], -v[128:129]
	v_add_f64 v[2:3], v[98:99], v[84:85]
	v_add_f64 v[10:11], v[84:85], v[96:97]
	;; [unrolled: 1-line block ×3, first 2 shown]
	v_add_f64 v[22:23], v[94:95], -v[130:131]
	v_add_f64 v[4:5], v[78:79], v[88:89]
	v_add_f64 v[14:15], v[100:101], v[86:87]
	v_fma_f64 v[18:19], v[0:1], -0.5, v[78:79]
	v_fma_f64 v[20:21], v[8:9], s[4:5], v[6:7]
	v_fma_f64 v[6:7], v[8:9], s[6:7], v[6:7]
	v_add_f64 v[16:17], v[2:3], v[96:97]
	v_add_f64 v[2:3], v[80:81], v[94:95]
	v_fma_f64 v[10:11], v[10:11], -0.5, v[98:99]
	v_fma_f64 v[12:13], v[12:13], -0.5, v[100:101]
	v_add_f64 v[28:29], v[86:87], -v[126:127]
	v_fma_f64 v[26:27], v[22:23], s[6:7], v[18:19]
	v_mul_f64 v[8:9], v[20:21], s[6:7]
	v_mul_f64 v[20:21], v[20:21], 0.5
	v_add_f64 v[30:31], v[84:85], -v[96:97]
	v_fma_f64 v[18:19], v[22:23], s[4:5], v[18:19]
	v_mul_f64 v[22:23], v[6:7], s[6:7]
	v_mul_f64 v[6:7], v[6:7], -0.5
	v_add_f64 v[4:5], v[4:5], v[128:129]
	v_add_f64 v[14:15], v[14:15], v[126:127]
	;; [unrolled: 1-line block ×3, first 2 shown]
	v_fma_f64 v[32:33], v[26:27], 0.5, v[8:9]
	v_fma_f64 v[20:21], v[26:27], s[4:5], v[20:21]
	v_fma_f64 v[26:27], v[28:29], s[6:7], v[10:11]
	;; [unrolled: 1-line block ×5, first 2 shown]
	v_fma_f64 v[22:23], v[18:19], -0.5, v[22:23]
	v_fma_f64 v[36:37], v[18:19], s[4:5], v[6:7]
	v_add_f64 v[0:1], v[16:17], v[4:5]
	v_add_f64 v[2:3], v[14:15], v[24:25]
	;; [unrolled: 1-line block ×4, first 2 shown]
	v_add_f64 v[4:5], v[16:17], -v[4:5]
	v_add_f64 v[6:7], v[14:15], -v[24:25]
	v_add_f64 v[16:17], v[28:29], v[22:23]
	v_add_f64 v[18:19], v[30:31], v[36:37]
	v_add_f64 v[12:13], v[26:27], -v[32:33]
	v_add_f64 v[14:15], v[34:35], -v[20:21]
	;; [unrolled: 1-line block ×4, first 2 shown]
	v_mul_u32_u24_e32 v24, 0x240, v132
	v_lshlrev_b32_e32 v25, 4, v133
	v_add3_u32 v24, 0, v24, v25
	ds_write_b128 v24, v[0:3]
	ds_write_b128 v24, v[8:11] offset:96
	ds_write_b128 v24, v[16:19] offset:192
	;; [unrolled: 1-line block ×5, first 2 shown]
	v_mov_b32_e32 v0, 57
	v_mul_lo_u16_sdwa v0, v56, v0 dst_sel:DWORD dst_unused:UNUSED_PAD src0_sel:BYTE_0 src1_sel:DWORD
	v_lshrrev_b16_e32 v53, 11, v0
	v_mul_lo_u16_e32 v0, 36, v53
	v_sub_u16_e32 v54, v56, v0
	v_mul_u32_u24_sdwa v0, v54, v63 dst_sel:DWORD dst_unused:UNUSED_PAD src0_sel:BYTE_0 src1_sel:DWORD
	v_lshlrev_b32_e32 v16, 4, v0
	s_waitcnt lgkmcnt(0)
	s_barrier
	global_load_dwordx4 v[0:3], v16, s[8:9] offset:480
	global_load_dwordx4 v[4:7], v16, s[8:9] offset:496
	;; [unrolled: 1-line block ×4, first 2 shown]
	v_mul_u32_u24_sdwa v17, v57, s14 dst_sel:DWORD dst_unused:UNUSED_PAD src0_sel:WORD_0 src1_sel:DWORD
	v_lshrrev_b32_e32 v51, 21, v17
	global_load_dwordx4 v[16:19], v16, s[8:9] offset:544
	v_mul_lo_u16_e32 v20, 36, v51
	v_sub_u16_e32 v52, v57, v20
	v_mul_u32_u24_e32 v20, 5, v52
	v_lshlrev_b32_e32 v40, 4, v20
	global_load_dwordx4 v[20:23], v40, s[8:9] offset:480
	global_load_dwordx4 v[24:27], v40, s[8:9] offset:496
	;; [unrolled: 1-line block ×5, first 2 shown]
	v_mul_u32_u24_sdwa v40, v62, s14 dst_sel:DWORD dst_unused:UNUSED_PAD src0_sel:WORD_0 src1_sel:DWORD
	v_lshrrev_b32_e32 v49, 21, v40
	v_mul_lo_u16_e32 v40, 36, v49
	v_sub_u16_e32 v50, v62, v40
	v_mul_u32_u24_e32 v40, 5, v50
	v_lshlrev_b32_e32 v55, 4, v40
	global_load_dwordx4 v[40:43], v55, s[8:9] offset:480
	global_load_dwordx4 v[44:47], v55, s[8:9] offset:496
	ds_read_b128 v[62:65], v60 offset:9216
	ds_read_b128 v[66:69], v60 offset:6912
	;; [unrolled: 1-line block ×5, first 2 shown]
	global_load_dwordx4 v[82:85], v55, s[8:9] offset:512
	ds_read_b128 v[90:93], v60 offset:36864
	ds_read_b128 v[86:89], v60 offset:25344
	s_waitcnt vmcnt(12) lgkmcnt(6)
	v_mul_f64 v[94:95], v[64:65], v[2:3]
	v_mul_f64 v[2:3], v[62:63], v[2:3]
	s_waitcnt vmcnt(11) lgkmcnt(4)
	v_mul_f64 v[96:97], v[72:73], v[6:7]
	v_mul_f64 v[6:7], v[70:71], v[6:7]
	;; [unrolled: 3-line block ×3, first 2 shown]
	v_fma_f64 v[100:101], v[62:63], v[0:1], v[94:95]
	v_fma_f64 v[102:103], v[64:65], v[0:1], -v[2:3]
	global_load_dwordx4 v[62:65], v55, s[8:9] offset:528
	v_fma_f64 v[104:105], v[70:71], v[4:5], v[96:97]
	v_fma_f64 v[106:107], v[72:73], v[4:5], -v[6:7]
	ds_read_b128 v[4:7], v60 offset:46080
	ds_read_b128 v[0:3], v60 offset:34560
	s_waitcnt vmcnt(10) lgkmcnt(3)
	v_mul_f64 v[94:95], v[92:93], v[10:11]
	v_fma_f64 v[108:109], v[80:81], v[12:13], -v[14:15]
	v_mul_f64 v[14:15], v[90:91], v[10:11]
	v_fma_f64 v[98:99], v[78:79], v[12:13], v[98:99]
	ds_read_b128 v[10:13], v60 offset:43776
	ds_read_b128 v[70:73], v60 offset:11520
	s_waitcnt vmcnt(9) lgkmcnt(3)
	v_mul_f64 v[112:113], v[6:7], v[18:19]
	v_mul_f64 v[18:19], v[4:5], v[18:19]
	v_fma_f64 v[110:111], v[90:91], v[8:9], v[94:95]
	ds_read_b128 v[78:81], v60 offset:13824
	ds_read_b128 v[94:97], v60 offset:20736
	s_waitcnt vmcnt(8) lgkmcnt(2)
	v_mul_f64 v[114:115], v[72:73], v[22:23]
	v_fma_f64 v[8:9], v[92:93], v[8:9], -v[14:15]
	v_mul_f64 v[14:15], v[70:71], v[22:23]
	ds_read_b128 v[90:93], v60 offset:23040
	v_fma_f64 v[112:113], v[4:5], v[16:17], v[112:113]
	v_fma_f64 v[116:117], v[6:7], v[16:17], -v[18:19]
	ds_read_b128 v[4:7], v60 offset:29952
	s_waitcnt vmcnt(7) lgkmcnt(2)
	v_mul_f64 v[22:23], v[96:97], v[26:27]
	v_mul_f64 v[26:27], v[94:95], v[26:27]
	v_fma_f64 v[70:71], v[70:71], v[20:21], v[114:115]
	v_fma_f64 v[72:73], v[72:73], v[20:21], -v[14:15]
	ds_read_b128 v[14:17], v60 offset:32256
	ds_read_b128 v[18:21], v60 offset:39168
	s_waitcnt vmcnt(6) lgkmcnt(2)
	v_mul_f64 v[114:115], v[6:7], v[30:31]
	v_mul_f64 v[30:31], v[4:5], v[30:31]
	v_fma_f64 v[94:95], v[94:95], v[24:25], v[22:23]
	v_fma_f64 v[96:97], v[96:97], v[24:25], -v[26:27]
	s_waitcnt vmcnt(5) lgkmcnt(0)
	v_mul_f64 v[26:27], v[20:21], v[34:35]
	ds_read_b128 v[22:25], v60 offset:41472
	v_mul_f64 v[34:35], v[18:19], v[34:35]
	v_fma_f64 v[114:115], v[4:5], v[28:29], v[114:115]
	v_fma_f64 v[118:119], v[6:7], v[28:29], -v[30:31]
	ds_read_b128 v[4:7], v60 offset:48384
	s_waitcnt vmcnt(3)
	v_mul_f64 v[30:31], v[80:81], v[42:43]
	v_fma_f64 v[120:121], v[18:19], v[32:33], v[26:27]
	s_waitcnt lgkmcnt(0)
	v_mul_f64 v[26:27], v[6:7], v[38:39]
	v_mul_f64 v[28:29], v[4:5], v[38:39]
	v_fma_f64 v[122:123], v[20:21], v[32:33], -v[34:35]
	v_mul_f64 v[32:33], v[78:79], v[42:43]
	v_fma_f64 v[78:79], v[78:79], v[40:41], v[30:31]
	s_waitcnt vmcnt(2)
	v_mul_f64 v[30:31], v[92:93], v[46:47]
	ds_read_b128 v[18:21], v60 offset:50688
	v_fma_f64 v[38:39], v[4:5], v[36:37], v[26:27]
	v_fma_f64 v[42:43], v[6:7], v[36:37], -v[28:29]
	global_load_dwordx4 v[4:7], v55, s[8:9] offset:544
	v_mul_u32_u24_sdwa v26, v61, s14 dst_sel:DWORD dst_unused:UNUSED_PAD src0_sel:WORD_0 src1_sel:DWORD
	v_lshrrev_b32_e32 v55, 21, v26
	v_mul_lo_u16_e32 v26, 36, v55
	v_sub_u16_e32 v128, v61, v26
	v_mul_u32_u24_e32 v26, 5, v128
	v_lshlrev_b32_e32 v124, 4, v26
	v_fma_f64 v[40:41], v[80:81], v[40:41], -v[32:33]
	v_mul_f64 v[32:33], v[90:91], v[46:47]
	global_load_dwordx4 v[26:29], v124, s[8:9] offset:480
	s_waitcnt vmcnt(3)
	v_mul_f64 v[46:47], v[16:17], v[84:85]
	v_mul_f64 v[80:81], v[14:15], v[84:85]
	v_fma_f64 v[84:85], v[90:91], v[44:45], v[30:31]
	v_fma_f64 v[44:45], v[92:93], v[44:45], -v[32:33]
	global_load_dwordx4 v[30:33], v124, s[8:9] offset:496
	global_load_dwordx4 v[34:37], v124, s[8:9] offset:512
	v_fma_f64 v[46:47], v[14:15], v[82:83], v[46:47]
	v_fma_f64 v[80:81], v[16:17], v[82:83], -v[80:81]
	global_load_dwordx4 v[14:17], v124, s[8:9] offset:528
	s_waitcnt vmcnt(5)
	v_mul_f64 v[82:83], v[24:25], v[64:65]
	v_mul_f64 v[64:65], v[22:23], v[64:65]
	v_fma_f64 v[82:83], v[22:23], v[62:63], v[82:83]
	v_fma_f64 v[62:63], v[24:25], v[62:63], -v[64:65]
	global_load_dwordx4 v[22:25], v124, s[8:9] offset:544
	s_waitcnt vmcnt(5) lgkmcnt(0)
	v_mul_f64 v[64:65], v[20:21], v[6:7]
	v_mul_f64 v[6:7], v[18:19], v[6:7]
	v_fma_f64 v[64:65], v[18:19], v[4:5], v[64:65]
	s_waitcnt vmcnt(4)
	v_mul_f64 v[90:91], v[76:77], v[28:29]
	v_fma_f64 v[92:93], v[20:21], v[4:5], -v[6:7]
	v_mul_f64 v[4:5], v[74:75], v[28:29]
	s_waitcnt vmcnt(3)
	v_mul_f64 v[6:7], v[88:89], v[32:33]
	v_fma_f64 v[74:75], v[74:75], v[26:27], v[90:91]
	v_mul_f64 v[18:19], v[86:87], v[32:33]
	s_waitcnt vmcnt(2)
	v_mul_f64 v[20:21], v[2:3], v[36:37]
	v_fma_f64 v[32:33], v[76:77], v[26:27], -v[4:5]
	v_mul_f64 v[26:27], v[0:1], v[36:37]
	v_fma_f64 v[36:37], v[86:87], v[30:31], v[6:7]
	ds_read_b128 v[4:7], v60 offset:52992
	v_fma_f64 v[76:77], v[88:89], v[30:31], -v[18:19]
	v_fma_f64 v[86:87], v[0:1], v[34:35], v[20:21]
	s_waitcnt vmcnt(1)
	v_mul_f64 v[18:19], v[12:13], v[16:17]
	v_fma_f64 v[34:35], v[2:3], v[34:35], -v[26:27]
	ds_read_b128 v[0:3], v60
	v_mul_f64 v[16:17], v[10:11], v[16:17]
	v_add_f64 v[26:27], v[108:109], v[116:117]
	v_add_f64 v[30:31], v[104:105], -v[110:111]
	v_fma_f64 v[88:89], v[10:11], v[14:15], v[18:19]
	v_add_f64 v[18:19], v[106:107], v[8:9]
	s_waitcnt vmcnt(0) lgkmcnt(1)
	v_mul_f64 v[20:21], v[6:7], v[24:25]
	v_mul_f64 v[24:25], v[4:5], v[24:25]
	v_fma_f64 v[90:91], v[12:13], v[14:15], -v[16:17]
	v_fma_f64 v[10:11], v[26:27], -0.5, v[102:103]
	v_add_f64 v[12:13], v[98:99], v[112:113]
	v_add_f64 v[14:15], v[98:99], -v[112:113]
	v_add_f64 v[16:17], v[104:105], v[110:111]
	v_add_f64 v[26:27], v[108:109], -v[116:117]
	v_fma_f64 v[124:125], v[4:5], v[22:23], v[20:21]
	v_fma_f64 v[126:127], v[6:7], v[22:23], -v[24:25]
	s_waitcnt lgkmcnt(0)
	v_add_f64 v[20:21], v[2:3], v[106:107]
	v_add_f64 v[4:5], v[0:1], v[104:105]
	v_fma_f64 v[12:13], v[12:13], -0.5, v[100:101]
	v_fma_f64 v[24:25], v[14:15], s[4:5], v[10:11]
	v_add_f64 v[6:7], v[100:101], v[98:99]
	v_add_f64 v[22:23], v[102:103], v[108:109]
	v_fma_f64 v[10:11], v[14:15], s[6:7], v[10:11]
	v_fma_f64 v[16:17], v[16:17], -0.5, v[0:1]
	v_fma_f64 v[18:19], v[18:19], -0.5, v[2:3]
	v_add_f64 v[20:21], v[20:21], v[8:9]
	v_fma_f64 v[28:29], v[26:27], s[6:7], v[12:13]
	v_mul_f64 v[14:15], v[24:25], s[6:7]
	v_mul_f64 v[24:25], v[24:25], 0.5
	v_add_f64 v[8:9], v[106:107], -v[8:9]
	v_add_f64 v[4:5], v[4:5], v[110:111]
	v_add_f64 v[6:7], v[6:7], v[112:113]
	;; [unrolled: 1-line block ×3, first 2 shown]
	v_fma_f64 v[12:13], v[26:27], s[4:5], v[12:13]
	v_mul_f64 v[26:27], v[10:11], s[6:7]
	v_mul_f64 v[10:11], v[10:11], -0.5
	v_fma_f64 v[14:15], v[28:29], 0.5, v[14:15]
	v_fma_f64 v[24:25], v[28:29], s[4:5], v[24:25]
	v_fma_f64 v[28:29], v[8:9], s[6:7], v[16:17]
	;; [unrolled: 1-line block ×3, first 2 shown]
	v_add_f64 v[0:1], v[4:5], v[6:7]
	v_add_f64 v[2:3], v[20:21], v[22:23]
	v_fma_f64 v[100:101], v[8:9], s[4:5], v[16:17]
	v_fma_f64 v[30:31], v[30:31], s[6:7], v[18:19]
	v_fma_f64 v[26:27], v[12:13], -0.5, v[26:27]
	v_fma_f64 v[102:103], v[12:13], s[4:5], v[10:11]
	v_add_f64 v[8:9], v[28:29], v[14:15]
	v_add_f64 v[10:11], v[98:99], v[24:25]
	v_add_f64 v[12:13], v[28:29], -v[14:15]
	v_add_f64 v[14:15], v[98:99], -v[24:25]
	v_lshlrev_b32_sdwa v24, v48, v54 dst_sel:DWORD dst_unused:UNUSED_PAD src0_sel:DWORD src1_sel:BYTE_0
	v_mul_u32_u24_e32 v25, 0xd80, v53
	v_add3_u32 v48, 0, v25, v24
	v_add_f64 v[4:5], v[4:5], -v[6:7]
	v_add_f64 v[6:7], v[20:21], -v[22:23]
	v_add_f64 v[16:17], v[100:101], v[26:27]
	v_add_f64 v[18:19], v[30:31], v[102:103]
	v_add_f64 v[20:21], v[100:101], -v[26:27]
	v_add_f64 v[22:23], v[30:31], -v[102:103]
	ds_read_b128 v[24:27], v60 offset:2304
	ds_read_b128 v[28:31], v60 offset:4608
	s_waitcnt lgkmcnt(0)
	s_barrier
	ds_write_b128 v48, v[0:3]
	v_add_f64 v[0:1], v[118:119], v[42:43]
	ds_write_b128 v48, v[8:11] offset:576
	ds_write_b128 v48, v[16:19] offset:1152
	;; [unrolled: 1-line block ×5, first 2 shown]
	v_add_f64 v[2:3], v[24:25], v[94:95]
	v_add_f64 v[8:9], v[114:115], -v[38:39]
	v_add_f64 v[4:5], v[70:71], v[114:115]
	v_add_f64 v[10:11], v[94:95], v[120:121]
	;; [unrolled: 1-line block ×4, first 2 shown]
	v_fma_f64 v[6:7], v[0:1], -0.5, v[72:73]
	v_add_f64 v[0:1], v[114:115], v[38:39]
	v_add_f64 v[16:17], v[2:3], v[120:121]
	;; [unrolled: 1-line block ×3, first 2 shown]
	v_add_f64 v[22:23], v[118:119], -v[42:43]
	v_add_f64 v[4:5], v[4:5], v[38:39]
	v_fma_f64 v[10:11], v[10:11], -0.5, v[24:25]
	v_fma_f64 v[12:13], v[12:13], -0.5, v[26:27]
	v_fma_f64 v[20:21], v[8:9], s[4:5], v[6:7]
	v_fma_f64 v[18:19], v[0:1], -0.5, v[70:71]
	v_fma_f64 v[6:7], v[8:9], s[6:7], v[6:7]
	v_add_f64 v[14:15], v[14:15], v[122:123]
	v_add_f64 v[24:25], v[2:3], v[42:43]
	v_add_f64 v[38:39], v[96:97], -v[122:123]
	v_add_f64 v[42:43], v[94:95], -v[120:121]
	v_add_f64 v[0:1], v[16:17], v[4:5]
	v_mul_f64 v[8:9], v[20:21], s[6:7]
	v_fma_f64 v[26:27], v[22:23], s[6:7], v[18:19]
	v_mul_f64 v[20:21], v[20:21], 0.5
	v_fma_f64 v[18:19], v[22:23], s[4:5], v[18:19]
	v_mul_f64 v[22:23], v[6:7], s[6:7]
	v_mul_f64 v[6:7], v[6:7], -0.5
	v_add_f64 v[2:3], v[14:15], v[24:25]
	v_fma_f64 v[70:71], v[42:43], s[4:5], v[12:13]
	v_fma_f64 v[42:43], v[42:43], s[6:7], v[12:13]
	v_fma_f64 v[53:54], v[26:27], 0.5, v[8:9]
	v_fma_f64 v[20:21], v[26:27], s[4:5], v[20:21]
	v_fma_f64 v[26:27], v[38:39], s[6:7], v[10:11]
	;; [unrolled: 1-line block ×3, first 2 shown]
	v_fma_f64 v[22:23], v[18:19], -0.5, v[22:23]
	v_fma_f64 v[72:73], v[18:19], s[4:5], v[6:7]
	v_add_f64 v[6:7], v[14:15], -v[24:25]
	v_mul_u32_u24_e32 v24, 0xd80, v51
	v_lshlrev_b32_e32 v25, 4, v52
	v_add3_u32 v24, 0, v24, v25
	v_add_f64 v[8:9], v[26:27], v[53:54]
	v_add_f64 v[10:11], v[70:71], v[20:21]
	ds_write_b128 v24, v[0:3]
	v_add_f64 v[0:1], v[80:81], v[92:93]
	v_add_f64 v[4:5], v[16:17], -v[4:5]
	v_add_f64 v[16:17], v[38:39], v[22:23]
	v_add_f64 v[18:19], v[42:43], v[72:73]
	v_add_f64 v[12:13], v[26:27], -v[53:54]
	v_add_f64 v[14:15], v[70:71], -v[20:21]
	;; [unrolled: 1-line block ×4, first 2 shown]
	ds_write_b128 v24, v[8:11] offset:576
	ds_write_b128 v24, v[16:19] offset:1152
	;; [unrolled: 1-line block ×5, first 2 shown]
	v_add_f64 v[2:3], v[28:29], v[84:85]
	v_fma_f64 v[6:7], v[0:1], -0.5, v[40:41]
	v_add_f64 v[0:1], v[46:47], v[64:65]
	v_add_f64 v[8:9], v[46:47], -v[64:65]
	v_add_f64 v[4:5], v[78:79], v[46:47]
	v_add_f64 v[10:11], v[84:85], v[82:83]
	v_add_f64 v[12:13], v[44:45], v[62:63]
	v_add_f64 v[14:15], v[30:31], v[44:45]
	v_add_f64 v[16:17], v[2:3], v[82:83]
	v_add_f64 v[2:3], v[40:41], v[80:81]
	v_fma_f64 v[18:19], v[0:1], -0.5, v[78:79]
	v_fma_f64 v[20:21], v[8:9], s[4:5], v[6:7]
	v_add_f64 v[22:23], v[80:81], -v[92:93]
	v_fma_f64 v[6:7], v[8:9], s[6:7], v[6:7]
	v_add_f64 v[4:5], v[4:5], v[64:65]
	v_fma_f64 v[10:11], v[10:11], -0.5, v[28:29]
	v_fma_f64 v[12:13], v[12:13], -0.5, v[30:31]
	v_add_f64 v[14:15], v[14:15], v[62:63]
	v_add_f64 v[24:25], v[2:3], v[92:93]
	v_mul_f64 v[8:9], v[20:21], s[6:7]
	v_fma_f64 v[26:27], v[22:23], s[6:7], v[18:19]
	v_mul_f64 v[20:21], v[20:21], 0.5
	v_add_f64 v[28:29], v[44:45], -v[62:63]
	v_add_f64 v[30:31], v[84:85], -v[82:83]
	v_fma_f64 v[18:19], v[22:23], s[4:5], v[18:19]
	v_mul_f64 v[22:23], v[6:7], s[6:7]
	v_mul_f64 v[6:7], v[6:7], -0.5
	v_add_f64 v[0:1], v[16:17], v[4:5]
	v_add_f64 v[2:3], v[14:15], v[24:25]
	v_fma_f64 v[38:39], v[26:27], 0.5, v[8:9]
	v_fma_f64 v[20:21], v[26:27], s[4:5], v[20:21]
	v_fma_f64 v[26:27], v[28:29], s[6:7], v[10:11]
	;; [unrolled: 1-line block ×5, first 2 shown]
	v_fma_f64 v[22:23], v[18:19], -0.5, v[22:23]
	v_fma_f64 v[42:43], v[18:19], s[4:5], v[6:7]
	v_add_f64 v[6:7], v[14:15], -v[24:25]
	v_mul_u32_u24_e32 v24, 0xd80, v49
	v_lshlrev_b32_e32 v25, 4, v50
	v_add3_u32 v24, 0, v24, v25
	v_add_f64 v[8:9], v[26:27], v[38:39]
	v_add_f64 v[10:11], v[40:41], v[20:21]
	ds_write_b128 v24, v[0:3]
	v_add_f64 v[0:1], v[34:35], v[126:127]
	v_add_f64 v[4:5], v[16:17], -v[4:5]
	v_add_f64 v[16:17], v[28:29], v[22:23]
	v_add_f64 v[18:19], v[30:31], v[42:43]
	v_add_f64 v[12:13], v[26:27], -v[38:39]
	v_add_f64 v[14:15], v[40:41], -v[20:21]
	;; [unrolled: 1-line block ×4, first 2 shown]
	ds_write_b128 v24, v[8:11] offset:576
	ds_write_b128 v24, v[16:19] offset:1152
	;; [unrolled: 1-line block ×5, first 2 shown]
	v_fma_f64 v[6:7], v[0:1], -0.5, v[32:33]
	v_add_f64 v[0:1], v[86:87], v[124:125]
	v_add_f64 v[8:9], v[86:87], -v[124:125]
	v_add_f64 v[2:3], v[66:67], v[36:37]
	v_add_f64 v[10:11], v[36:37], v[88:89]
	;; [unrolled: 1-line block ×3, first 2 shown]
	v_add_f64 v[22:23], v[34:35], -v[126:127]
	v_add_f64 v[4:5], v[74:75], v[86:87]
	v_add_f64 v[14:15], v[68:69], v[76:77]
	v_fma_f64 v[18:19], v[0:1], -0.5, v[74:75]
	v_fma_f64 v[20:21], v[8:9], s[4:5], v[6:7]
	v_fma_f64 v[6:7], v[8:9], s[6:7], v[6:7]
	v_add_f64 v[16:17], v[2:3], v[88:89]
	v_add_f64 v[2:3], v[32:33], v[34:35]
	v_fma_f64 v[10:11], v[10:11], -0.5, v[66:67]
	v_fma_f64 v[12:13], v[12:13], -0.5, v[68:69]
	v_add_f64 v[28:29], v[76:77], -v[90:91]
	v_fma_f64 v[26:27], v[22:23], s[6:7], v[18:19]
	v_mul_f64 v[8:9], v[20:21], s[6:7]
	v_mul_f64 v[20:21], v[20:21], 0.5
	v_add_f64 v[30:31], v[36:37], -v[88:89]
	v_fma_f64 v[18:19], v[22:23], s[4:5], v[18:19]
	v_mul_f64 v[22:23], v[6:7], s[6:7]
	v_mul_f64 v[6:7], v[6:7], -0.5
	v_add_f64 v[4:5], v[4:5], v[124:125]
	v_add_f64 v[14:15], v[14:15], v[90:91]
	;; [unrolled: 1-line block ×3, first 2 shown]
	v_fma_f64 v[32:33], v[26:27], 0.5, v[8:9]
	v_fma_f64 v[20:21], v[26:27], s[4:5], v[20:21]
	v_fma_f64 v[26:27], v[28:29], s[6:7], v[10:11]
	;; [unrolled: 1-line block ×5, first 2 shown]
	v_fma_f64 v[22:23], v[18:19], -0.5, v[22:23]
	v_fma_f64 v[36:37], v[18:19], s[4:5], v[6:7]
	v_add_f64 v[0:1], v[16:17], v[4:5]
	v_add_f64 v[2:3], v[14:15], v[24:25]
	;; [unrolled: 1-line block ×4, first 2 shown]
	v_add_f64 v[4:5], v[16:17], -v[4:5]
	v_add_f64 v[6:7], v[14:15], -v[24:25]
	v_add_f64 v[16:17], v[28:29], v[22:23]
	v_add_f64 v[18:19], v[30:31], v[36:37]
	v_add_f64 v[12:13], v[26:27], -v[32:33]
	v_add_f64 v[14:15], v[34:35], -v[20:21]
	;; [unrolled: 1-line block ×4, first 2 shown]
	v_mul_u32_u24_e32 v24, 0xd80, v55
	v_lshlrev_b32_e32 v25, 4, v128
	v_add3_u32 v24, 0, v24, v25
	ds_write_b128 v24, v[0:3]
	ds_write_b128 v24, v[8:11] offset:576
	ds_write_b128 v24, v[16:19] offset:1152
	;; [unrolled: 1-line block ×5, first 2 shown]
	v_mul_u32_u24_e32 v0, 3, v56
	v_lshlrev_b32_e32 v2, 4, v0
	s_waitcnt lgkmcnt(0)
	s_barrier
	global_load_dwordx4 v[12:15], v2, s[8:9] offset:3360
	global_load_dwordx4 v[16:19], v2, s[8:9] offset:3376
	;; [unrolled: 1-line block ×3, first 2 shown]
	s_movk_i32 s4, 0x48
	v_add_u32_e32 v0, 0xffffffb8, v56
	v_cmp_gt_u32_e32 vcc, s4, v56
	v_cndmask_b32_e32 v4, v0, v57, vcc
	v_mov_b32_e32 v8, 0
	v_mul_i32_i24_e32 v7, 3, v4
	v_lshlrev_b64 v[0:1], 4, v[7:8]
	v_mov_b32_e32 v9, s9
	v_add_co_u32_e32 v0, vcc, s8, v0
	v_addc_co_u32_e32 v1, vcc, v9, v1, vcc
	global_load_dwordx4 v[24:27], v[0:1], off offset:3360
	global_load_dwordx4 v[28:31], v[0:1], off offset:3376
	;; [unrolled: 1-line block ×3, first 2 shown]
	v_add_co_u32_e32 v10, vcc, s8, v2
	v_addc_co_u32_e32 v11, vcc, 0, v9, vcc
	v_add_co_u32_e32 v0, vcc, s13, v10
	v_addc_co_u32_e32 v1, vcc, 0, v11, vcc
	global_load_dwordx4 v[36:39], v[0:1], off offset:2720
	s_movk_i32 s4, 0x1aa0
	v_add_co_u32_e32 v0, vcc, s4, v10
	v_addc_co_u32_e32 v1, vcc, 0, v11, vcc
	global_load_dwordx4 v[40:43], v[0:1], off offset:16
	global_load_dwordx4 v[48:51], v[0:1], off offset:32
	v_lshrrev_b16_e32 v5, 3, v61
	v_mul_u32_u24_e32 v5, 0x12f7, v5
	v_lshrrev_b32_e32 v5, 17, v5
	v_mul_lo_u16_e32 v5, 0xd8, v5
	v_sub_u16_e32 v125, v61, v5
	v_mul_u32_u24_e32 v5, 3, v125
	v_lshlrev_b32_e32 v5, 4, v5
	global_load_dwordx4 v[52:55], v5, s[8:9] offset:3360
	global_load_dwordx4 v[69:72], v5, s[8:9] offset:3376
	;; [unrolled: 1-line block ×3, first 2 shown]
	v_add_u16_e32 v5, 0x240, v56
	v_lshrrev_b16_e32 v6, 3, v5
	v_mul_u32_u24_e32 v6, 0x12f7, v6
	ds_read_b128 v[65:68], v60 offset:41472
	ds_read_b128 v[77:80], v60 offset:39168
	v_lshrrev_b32_e32 v6, 17, v6
	v_mul_lo_u16_e32 v7, 0xd8, v6
	v_sub_u16_e32 v5, v5, v7
	v_mul_u32_u24_e32 v7, 3, v5
	v_lshlrev_b32_e32 v93, 4, v7
	global_load_dwordx4 v[85:88], v93, s[8:9] offset:3360
	global_load_dwordx4 v[89:92], v93, s[8:9] offset:3376
	v_add_u16_e32 v7, 0x2d0, v56
	v_lshrrev_b16_e32 v94, 3, v7
	v_mul_u32_u24_e32 v94, 0x12f7, v94
	ds_read_b128 v[44:47], v60 offset:13824
	ds_read_b128 v[0:3], v60 offset:11520
	;; [unrolled: 1-line block ×3, first 2 shown]
	v_lshrrev_b32_e32 v94, 17, v94
	v_mul_lo_u16_e32 v94, 0xd8, v94
	v_sub_u16_e32 v7, v7, v94
	v_mul_u32_u24_e32 v97, 3, v7
	global_load_dwordx4 v[93:96], v93, s[8:9] offset:3392
	v_lshlrev_b32_e32 v115, 4, v97
	global_load_dwordx4 v[97:100], v115, s[8:9] offset:3360
	ds_read_b128 v[73:76], v60 offset:25344
	s_movk_i32 s4, 0x47
	v_cmp_lt_u32_e32 vcc, s4, v56
	v_lshlrev_b32_e32 v4, 4, v4
	v_lshlrev_b32_e32 v5, 4, v5
	s_movk_i32 s4, 0x35a0
	s_movk_i32 s5, 0x50a0
	s_waitcnt vmcnt(15) lgkmcnt(3)
	v_mul_f64 v[101:102], v[46:47], v[14:15]
	v_mul_f64 v[14:15], v[44:45], v[14:15]
	s_waitcnt vmcnt(13)
	v_mul_f64 v[105:106], v[67:68], v[22:23]
	v_mul_f64 v[22:23], v[65:66], v[22:23]
	v_fma_f64 v[101:102], v[44:45], v[12:13], v[101:102]
	v_fma_f64 v[107:108], v[46:47], v[12:13], -v[14:15]
	v_fma_f64 v[105:106], v[65:66], v[20:21], v[105:106]
	v_fma_f64 v[111:112], v[67:68], v[20:21], -v[22:23]
	ds_read_b128 v[20:23], v60 offset:29952
	s_waitcnt lgkmcnt(2)
	v_mul_f64 v[103:104], v[63:64], v[18:19]
	v_mul_f64 v[18:19], v[61:62], v[18:19]
	global_load_dwordx4 v[44:47], v115, s[8:9] offset:3376
	ds_read_b128 v[12:15], v60 offset:16128
	ds_read_b128 v[65:68], v60 offset:32256
	v_fma_f64 v[103:104], v[61:62], v[16:17], v[103:104]
	v_fma_f64 v[109:110], v[63:64], v[16:17], -v[18:19]
	ds_read_b128 v[16:19], v60 offset:18432
	global_load_dwordx4 v[61:64], v115, s[8:9] offset:3392
	s_waitcnt vmcnt(14) lgkmcnt(2)
	v_mul_f64 v[113:114], v[14:15], v[26:27]
	v_mul_f64 v[26:27], v[12:13], v[26:27]
	s_waitcnt vmcnt(13)
	v_mul_f64 v[115:116], v[22:23], v[30:31]
	v_mul_f64 v[30:31], v[20:21], v[30:31]
	v_fma_f64 v[113:114], v[12:13], v[24:25], v[113:114]
	v_fma_f64 v[117:118], v[14:15], v[24:25], -v[26:27]
	ds_read_b128 v[12:15], v60 offset:43776
	v_fma_f64 v[115:116], v[20:21], v[28:29], v[115:116]
	v_fma_f64 v[28:29], v[22:23], v[28:29], -v[30:31]
	ds_read_b128 v[20:23], v60 offset:46080
	s_waitcnt vmcnt(11) lgkmcnt(2)
	v_mul_f64 v[30:31], v[18:19], v[38:39]
	s_waitcnt lgkmcnt(1)
	v_mul_f64 v[24:25], v[14:15], v[34:35]
	v_mul_f64 v[26:27], v[12:13], v[34:35]
	;; [unrolled: 1-line block ×3, first 2 shown]
	s_waitcnt vmcnt(10)
	v_mul_f64 v[38:39], v[67:68], v[42:43]
	v_fma_f64 v[121:122], v[16:17], v[36:37], v[30:31]
	v_fma_f64 v[119:120], v[12:13], v[32:33], v[24:25]
	v_fma_f64 v[32:33], v[14:15], v[32:33], -v[26:27]
	v_mul_f64 v[24:25], v[65:66], v[42:43]
	s_waitcnt vmcnt(9) lgkmcnt(0)
	v_mul_f64 v[26:27], v[22:23], v[50:51]
	ds_read_b128 v[12:15], v60 offset:20736
	v_mul_f64 v[30:31], v[20:21], v[50:51]
	v_fma_f64 v[123:124], v[18:19], v[36:37], -v[34:35]
	v_fma_f64 v[65:66], v[65:66], v[40:41], v[38:39]
	s_waitcnt vmcnt(8) lgkmcnt(0)
	v_mul_f64 v[34:35], v[14:15], v[54:55]
	v_fma_f64 v[50:51], v[67:68], v[40:41], -v[24:25]
	v_fma_f64 v[67:68], v[20:21], v[48:49], v[26:27]
	ds_read_b128 v[16:19], v60 offset:23040
	ds_read_b128 v[24:27], v60 offset:34560
	v_mul_f64 v[36:37], v[12:13], v[54:55]
	v_fma_f64 v[48:49], v[22:23], v[48:49], -v[30:31]
	ds_read_b128 v[20:23], v60 offset:36864
	s_waitcnt vmcnt(7) lgkmcnt(1)
	v_mul_f64 v[30:31], v[26:27], v[71:72]
	v_fma_f64 v[54:55], v[12:13], v[52:53], v[34:35]
	v_mul_f64 v[38:39], v[24:25], v[71:72]
	v_fma_f64 v[52:53], v[14:15], v[52:53], -v[36:37]
	ds_read_b128 v[12:15], v60 offset:48384
	s_waitcnt vmcnt(5)
	v_mul_f64 v[36:37], v[18:19], v[87:88]
	v_fma_f64 v[71:72], v[24:25], v[69:70], v[30:31]
	s_waitcnt lgkmcnt(0)
	v_mul_f64 v[30:31], v[14:15], v[83:84]
	v_mul_f64 v[34:35], v[12:13], v[83:84]
	v_fma_f64 v[69:70], v[26:27], v[69:70], -v[38:39]
	v_mul_f64 v[38:39], v[16:17], v[87:88]
	ds_read_b128 v[24:27], v60 offset:50688
	v_fma_f64 v[87:88], v[16:17], v[85:86], v[36:37]
	s_waitcnt vmcnt(2)
	v_mul_f64 v[36:37], v[75:76], v[99:100]
	v_fma_f64 v[83:84], v[12:13], v[81:82], v[30:31]
	v_fma_f64 v[81:82], v[14:15], v[81:82], -v[34:35]
	v_mul_f64 v[12:13], v[22:23], v[91:92]
	v_mul_f64 v[14:15], v[20:21], v[91:92]
	s_waitcnt lgkmcnt(0)
	v_mul_f64 v[30:31], v[26:27], v[95:96]
	v_mul_f64 v[34:35], v[24:25], v[95:96]
	v_fma_f64 v[85:86], v[18:19], v[85:86], -v[38:39]
	v_mul_f64 v[38:39], v[73:74], v[99:100]
	v_fma_f64 v[73:74], v[73:74], v[97:98], v[36:37]
	v_add_f64 v[99:100], v[113:114], -v[119:120]
	v_fma_f64 v[91:92], v[20:21], v[89:90], v[12:13]
	v_fma_f64 v[89:90], v[22:23], v[89:90], -v[14:15]
	ds_read_b128 v[12:15], v60 offset:52992
	ds_read_b128 v[16:19], v60
	v_fma_f64 v[95:96], v[24:25], v[93:94], v[30:31]
	v_fma_f64 v[93:94], v[26:27], v[93:94], -v[34:35]
	v_add_f64 v[26:27], v[101:102], -v[105:106]
	v_fma_f64 v[75:76], v[75:76], v[97:98], -v[38:39]
	s_waitcnt lgkmcnt(0)
	v_add_f64 v[34:35], v[16:17], -v[103:104]
	s_waitcnt vmcnt(1)
	v_mul_f64 v[20:21], v[79:80], v[46:47]
	v_mul_f64 v[22:23], v[77:78], v[46:47]
	v_add_f64 v[36:37], v[18:19], -v[109:110]
	s_waitcnt vmcnt(0)
	v_mul_f64 v[24:25], v[14:15], v[63:64]
	v_add_f64 v[38:39], v[107:108], -v[111:112]
	v_fma_f64 v[42:43], v[101:102], 2.0, -v[26:27]
	v_mul_f64 v[30:31], v[12:13], v[63:64]
	v_fma_f64 v[40:41], v[16:17], 2.0, -v[34:35]
	v_fma_f64 v[63:64], v[77:78], v[44:45], v[20:21]
	v_fma_f64 v[77:78], v[79:80], v[44:45], -v[22:23]
	v_fma_f64 v[44:45], v[18:19], 2.0, -v[36:37]
	v_fma_f64 v[79:80], v[12:13], v[61:62], v[24:25]
	v_fma_f64 v[24:25], v[107:108], 2.0, -v[38:39]
	ds_read_b128 v[16:19], v60 offset:2304
	ds_read_b128 v[20:23], v60 offset:4608
	v_add_f64 v[12:13], v[40:41], -v[42:43]
	v_add_f64 v[101:102], v[117:118], -v[32:33]
	v_fma_f64 v[61:62], v[14:15], v[61:62], -v[30:31]
	s_waitcnt lgkmcnt(1)
	v_add_f64 v[46:47], v[16:17], -v[115:116]
	v_add_f64 v[97:98], v[18:19], -v[28:29]
	;; [unrolled: 1-line block ×3, first 2 shown]
	v_add_f64 v[24:25], v[34:35], v[38:39]
	v_add_f64 v[26:27], v[36:37], -v[26:27]
	v_fma_f64 v[28:29], v[40:41], 2.0, -v[12:13]
	v_fma_f64 v[40:41], v[113:114], 2.0, -v[99:100]
	v_fma_f64 v[42:43], v[117:118], 2.0, -v[101:102]
	v_fma_f64 v[103:104], v[16:17], 2.0, -v[46:47]
	v_fma_f64 v[105:106], v[18:19], 2.0, -v[97:98]
	v_fma_f64 v[30:31], v[44:45], 2.0, -v[14:15]
	v_fma_f64 v[16:17], v[34:35], 2.0, -v[24:25]
	v_fma_f64 v[18:19], v[36:37], 2.0, -v[26:27]
	ds_read_b128 v[32:35], v60 offset:6912
	ds_read_b128 v[36:39], v60 offset:9216
	s_waitcnt lgkmcnt(0)
	s_barrier
	v_add_f64 v[40:41], v[103:104], -v[40:41]
	v_add_f64 v[42:43], v[105:106], -v[42:43]
	ds_write_b128 v60, v[28:31]
	ds_write_b128 v60, v[16:19] offset:3456
	ds_write_b128 v60, v[12:15] offset:6912
	;; [unrolled: 1-line block ×3, first 2 shown]
	v_add_f64 v[44:45], v[20:21], -v[65:66]
	v_add_f64 v[50:51], v[22:23], -v[50:51]
	;; [unrolled: 1-line block ×4, first 2 shown]
	v_mov_b32_e32 v16, 0x3600
	v_cndmask_b32_e32 v48, 0, v16, vcc
	v_fma_f64 v[12:13], v[103:104], 2.0, -v[40:41]
	v_fma_f64 v[14:15], v[105:106], 2.0, -v[42:43]
	v_add_f64 v[16:17], v[46:47], v[101:102]
	v_add_f64 v[18:19], v[97:98], -v[99:100]
	v_add3_u32 v4, 0, v48, v4
	v_add_f64 v[48:49], v[32:33], -v[71:72]
	v_add_f64 v[65:66], v[54:55], -v[83:84]
	v_fma_f64 v[28:29], v[20:21], 2.0, -v[44:45]
	v_fma_f64 v[30:31], v[22:23], 2.0, -v[50:51]
	;; [unrolled: 1-line block ×4, first 2 shown]
	ds_write_b128 v4, v[12:15]
	v_fma_f64 v[12:13], v[46:47], 2.0, -v[16:17]
	v_fma_f64 v[14:15], v[97:98], 2.0, -v[18:19]
	v_add_f64 v[67:68], v[34:35], -v[69:70]
	v_fma_f64 v[32:33], v[32:33], 2.0, -v[48:49]
	v_add_f64 v[69:70], v[52:53], -v[81:82]
	;; [unrolled: 2-line block ×3, first 2 shown]
	v_add_f64 v[22:23], v[30:31], -v[22:23]
	v_add_f64 v[24:25], v[44:45], v[24:25]
	v_add_f64 v[26:27], v[50:51], -v[26:27]
	ds_write_b128 v4, v[12:15] offset:3456
	v_fma_f64 v[34:35], v[34:35], 2.0, -v[67:68]
	v_fma_f64 v[14:15], v[52:53], 2.0, -v[69:70]
	v_add_f64 v[12:13], v[32:33], -v[54:55]
	v_fma_f64 v[28:29], v[28:29], 2.0, -v[20:21]
	v_fma_f64 v[30:31], v[30:31], 2.0, -v[22:23]
	;; [unrolled: 1-line block ×4, first 2 shown]
	ds_write_b128 v4, v[40:43] offset:6912
	ds_write_b128 v4, v[16:19] offset:10368
	ds_write_b128 v60, v[28:31] offset:14976
	ds_write_b128 v60, v[44:47] offset:18432
	ds_write_b128 v60, v[20:23] offset:21888
	ds_write_b128 v60, v[24:27] offset:25344
	v_add_f64 v[14:15], v[34:35], -v[14:15]
	v_fma_f64 v[16:17], v[32:33], 2.0, -v[12:13]
	v_add_f64 v[20:21], v[48:49], v[69:70]
	v_add_f64 v[28:29], v[36:37], -v[91:92]
	v_add_f64 v[30:31], v[38:39], -v[89:90]
	;; [unrolled: 1-line block ×5, first 2 shown]
	v_fma_f64 v[18:19], v[34:35], 2.0, -v[14:15]
	v_add_f64 v[44:45], v[0:1], -v[63:64]
	v_fma_f64 v[24:25], v[48:49], 2.0, -v[20:21]
	v_fma_f64 v[34:35], v[36:37], 2.0, -v[28:29]
	;; [unrolled: 1-line block ×5, first 2 shown]
	v_add_f64 v[46:47], v[2:3], -v[77:78]
	v_add_f64 v[48:49], v[73:74], -v[79:80]
	;; [unrolled: 1-line block ×3, first 2 shown]
	v_fma_f64 v[26:27], v[67:68], 2.0, -v[22:23]
	v_lshl_add_u32 v4, v125, 4, 0
	ds_write_b128 v4, v[16:19] offset:27648
	ds_write_b128 v4, v[24:27] offset:31104
	v_add_f64 v[16:17], v[34:35], -v[38:39]
	v_add_f64 v[18:19], v[36:37], -v[42:43]
	v_fma_f64 v[38:39], v[0:1], 2.0, -v[44:45]
	v_fma_f64 v[42:43], v[2:3], 2.0, -v[46:47]
	;; [unrolled: 1-line block ×4, first 2 shown]
	ds_write_b128 v4, v[12:15] offset:34560
	ds_write_b128 v4, v[20:23] offset:38016
	v_add_f64 v[12:13], v[28:29], v[40:41]
	v_add_f64 v[14:15], v[30:31], -v[32:33]
	v_fma_f64 v[0:1], v[34:35], 2.0, -v[16:17]
	v_fma_f64 v[2:3], v[36:37], 2.0, -v[18:19]
	v_mul_u32_u24_e32 v4, 0x3600, v6
	v_add_f64 v[20:21], v[38:39], -v[24:25]
	v_add_f64 v[22:23], v[42:43], -v[26:27]
	v_add_f64 v[24:25], v[44:45], v[50:51]
	v_add_f64 v[26:27], v[46:47], -v[48:49]
	v_fma_f64 v[28:29], v[28:29], 2.0, -v[12:13]
	v_fma_f64 v[30:31], v[30:31], 2.0, -v[14:15]
	v_add3_u32 v4, 0, v4, v5
	ds_write_b128 v4, v[0:3]
	ds_write_b128 v4, v[28:31] offset:3456
	ds_write_b128 v4, v[16:19] offset:6912
	;; [unrolled: 1-line block ×3, first 2 shown]
	v_fma_f64 v[32:33], v[38:39], 2.0, -v[20:21]
	v_fma_f64 v[34:35], v[42:43], 2.0, -v[22:23]
	;; [unrolled: 1-line block ×4, first 2 shown]
	v_lshl_add_u32 v0, v7, 4, 0
	ds_write_b128 v0, v[32:35] offset:41472
	ds_write_b128 v0, v[36:39] offset:44928
	;; [unrolled: 1-line block ×4, first 2 shown]
	v_add_co_u32_e32 v0, vcc, s10, v10
	v_addc_co_u32_e32 v1, vcc, 0, v11, vcc
	s_waitcnt lgkmcnt(0)
	s_barrier
	global_load_dwordx4 v[4:7], v[0:1], off offset:1440
	v_add_co_u32_e32 v0, vcc, s4, v10
	v_addc_co_u32_e32 v1, vcc, 0, v11, vcc
	global_load_dwordx4 v[10:13], v[0:1], off offset:16
	global_load_dwordx4 v[14:17], v[0:1], off offset:32
	v_mul_u32_u24_e32 v0, 3, v57
	v_lshlrev_b32_e32 v57, 4, v0
	v_add_co_u32_e32 v61, vcc, s8, v57
	v_addc_co_u32_e32 v62, vcc, 0, v9, vcc
	v_add_co_u32_e32 v0, vcc, s10, v61
	v_addc_co_u32_e32 v1, vcc, 0, v62, vcc
	global_load_dwordx4 v[18:21], v[0:1], off offset:1440
	v_add_co_u32_e32 v0, vcc, s4, v61
	v_addc_co_u32_e32 v1, vcc, 0, v62, vcc
	global_load_dwordx4 v[22:25], v[0:1], off offset:16
	global_load_dwordx4 v[26:29], v[0:1], off offset:32
	v_add_co_u32_e32 v0, vcc, s12, v61
	v_addc_co_u32_e32 v1, vcc, 0, v62, vcc
	global_load_dwordx4 v[30:33], v[0:1], off offset:160
	v_add_co_u32_e32 v46, vcc, s5, v61
	v_addc_co_u32_e32 v47, vcc, 0, v62, vcc
	v_add_co_u32_e32 v50, vcc, s11, v61
	v_addc_co_u32_e32 v51, vcc, 0, v62, vcc
	ds_read_b128 v[34:37], v60 offset:13824
	ds_read_b128 v[0:3], v60 offset:11520
	global_load_dwordx4 v[38:41], v[46:47], off offset:16
	global_load_dwordx4 v[42:45], v[46:47], off offset:32
	s_movk_i32 s5, 0x6ba0
	global_load_dwordx4 v[50:53], v[50:51], off offset:2976
	v_add_co_u32_e32 v69, vcc, s5, v61
	v_addc_co_u32_e32 v70, vcc, 0, v62, vcc
	ds_read_b128 v[46:49], v60 offset:41472
	global_load_dwordx4 v[61:64], v[69:70], off offset:16
	global_load_dwordx4 v[65:68], v[69:70], off offset:32
	v_add_u32_e32 v69, 0x5100, v57
	v_add_co_u32_e32 v73, vcc, s8, v69
	v_addc_co_u32_e32 v74, vcc, 0, v9, vcc
	v_add_co_u32_e32 v69, vcc, s10, v73
	v_addc_co_u32_e32 v70, vcc, 0, v74, vcc
	global_load_dwordx4 v[69:72], v[69:70], off offset:1440
	v_add_co_u32_e32 v81, vcc, s4, v73
	v_addc_co_u32_e32 v82, vcc, 0, v74, vcc
	global_load_dwordx4 v[73:76], v[81:82], off offset:16
	global_load_dwordx4 v[77:80], v[81:82], off offset:32
	v_add_u32_e32 v57, 0x6c00, v57
	v_add_co_u32_e32 v57, vcc, s8, v57
	v_addc_co_u32_e32 v9, vcc, 0, v9, vcc
	v_add_co_u32_e32 v85, vcc, s10, v57
	v_addc_co_u32_e32 v86, vcc, 0, v9, vcc
	global_load_dwordx4 v[85:88], v[85:86], off offset:1440
	v_add_co_u32_e32 v97, vcc, s4, v57
	v_addc_co_u32_e32 v98, vcc, 0, v9, vcc
	ds_read_b128 v[81:84], v60 offset:27648
	s_waitcnt vmcnt(15) lgkmcnt(3)
	v_mul_f64 v[54:55], v[36:37], v[6:7]
	v_mul_f64 v[6:7], v[34:35], v[6:7]
	s_waitcnt vmcnt(14) lgkmcnt(0)
	v_mul_f64 v[103:104], v[83:84], v[12:13]
	v_mul_f64 v[12:13], v[81:82], v[12:13]
	s_waitcnt vmcnt(13)
	v_mul_f64 v[105:106], v[48:49], v[16:17]
	v_mul_f64 v[16:17], v[46:47], v[16:17]
	v_fma_f64 v[54:55], v[34:35], v[4:5], v[54:55]
	v_fma_f64 v[101:102], v[36:37], v[4:5], -v[6:7]
	ds_read_b128 v[4:7], v60 offset:25344
	ds_read_b128 v[34:37], v60 offset:39168
	global_load_dwordx4 v[89:92], v[97:98], off offset:16
	global_load_dwordx4 v[93:96], v[97:98], off offset:32
	ds_read_b128 v[97:100], v60 offset:16128
	v_fma_f64 v[103:104], v[81:82], v[10:11], v[103:104]
	v_fma_f64 v[107:108], v[83:84], v[10:11], -v[12:13]
	ds_read_b128 v[9:12], v60 offset:18432
	ds_read_b128 v[81:84], v60 offset:29952
	s_waitcnt vmcnt(14) lgkmcnt(2)
	v_mul_f64 v[109:110], v[99:100], v[20:21]
	v_mul_f64 v[20:21], v[97:98], v[20:21]
	v_fma_f64 v[105:106], v[46:47], v[14:15], v[105:106]
	v_fma_f64 v[111:112], v[48:49], v[14:15], -v[16:17]
	ds_read_b128 v[46:49], v60 offset:43776
	s_waitcnt vmcnt(13) lgkmcnt(1)
	v_mul_f64 v[113:114], v[83:84], v[24:25]
	v_mul_f64 v[24:25], v[81:82], v[24:25]
	ds_read_b128 v[13:16], v60 offset:32256
	v_fma_f64 v[97:98], v[97:98], v[18:19], v[109:110]
	v_fma_f64 v[99:100], v[99:100], v[18:19], -v[20:21]
	ds_read_b128 v[17:20], v60 offset:46080
	s_waitcnt vmcnt(12) lgkmcnt(2)
	v_mul_f64 v[109:110], v[48:49], v[28:29]
	s_waitcnt vmcnt(11)
	v_mul_f64 v[115:116], v[11:12], v[32:33]
	v_mul_f64 v[32:33], v[9:10], v[32:33]
	;; [unrolled: 1-line block ×3, first 2 shown]
	v_fma_f64 v[81:82], v[81:82], v[22:23], v[113:114]
	v_fma_f64 v[83:84], v[83:84], v[22:23], -v[24:25]
	ds_read_b128 v[21:24], v60 offset:23040
	v_fma_f64 v[46:47], v[46:47], v[26:27], v[109:110]
	v_fma_f64 v[109:110], v[9:10], v[30:31], v[115:116]
	v_fma_f64 v[113:114], v[11:12], v[30:31], -v[32:33]
	ds_read_b128 v[9:12], v60 offset:20736
	v_fma_f64 v[48:49], v[48:49], v[26:27], -v[28:29]
	s_waitcnt vmcnt(10) lgkmcnt(3)
	v_mul_f64 v[25:26], v[15:16], v[40:41]
	v_mul_f64 v[27:28], v[13:14], v[40:41]
	s_waitcnt vmcnt(9) lgkmcnt(2)
	v_mul_f64 v[29:30], v[19:20], v[44:45]
	v_mul_f64 v[31:32], v[17:18], v[44:45]
	;; [unrolled: 3-line block ×3, first 2 shown]
	v_add_f64 v[46:47], v[97:98], -v[46:47]
	v_add_f64 v[48:49], v[99:100], -v[48:49]
	v_fma_f64 v[52:53], v[13:14], v[38:39], v[25:26]
	v_fma_f64 v[38:39], v[15:16], v[38:39], -v[27:28]
	ds_read_b128 v[13:16], v60 offset:34560
	v_fma_f64 v[115:116], v[17:18], v[42:43], v[29:30]
	v_fma_f64 v[42:43], v[19:20], v[42:43], -v[31:32]
	v_fma_f64 v[117:118], v[9:10], v[50:51], v[40:41]
	v_fma_f64 v[44:45], v[11:12], v[50:51], -v[44:45]
	ds_read_b128 v[9:12], v60 offset:48384
	ds_read_b128 v[17:20], v60 offset:36864
	s_waitcnt vmcnt(7) lgkmcnt(2)
	v_mul_f64 v[29:30], v[15:16], v[63:64]
	v_mul_f64 v[31:32], v[13:14], v[63:64]
	s_waitcnt vmcnt(5)
	v_mul_f64 v[63:64], v[23:24], v[71:72]
	s_waitcnt lgkmcnt(1)
	v_mul_f64 v[40:41], v[11:12], v[67:68]
	v_mul_f64 v[50:51], v[9:10], v[67:68]
	;; [unrolled: 1-line block ×3, first 2 shown]
	ds_read_b128 v[25:28], v60 offset:50688
	v_add_f64 v[42:43], v[113:114], -v[42:43]
	v_fma_f64 v[71:72], v[13:14], v[61:62], v[29:30]
	v_fma_f64 v[61:62], v[15:16], v[61:62], -v[31:32]
	v_fma_f64 v[63:64], v[21:22], v[69:70], v[63:64]
	v_fma_f64 v[119:120], v[9:10], v[65:66], v[40:41]
	v_fma_f64 v[50:51], v[11:12], v[65:66], -v[50:51]
	s_waitcnt vmcnt(4) lgkmcnt(1)
	v_mul_f64 v[9:10], v[19:20], v[75:76]
	v_mul_f64 v[11:12], v[17:18], v[75:76]
	s_waitcnt vmcnt(3) lgkmcnt(0)
	v_mul_f64 v[21:22], v[27:28], v[79:80]
	v_fma_f64 v[65:66], v[23:24], v[69:70], -v[67:68]
	v_mul_f64 v[23:24], v[25:26], v[79:80]
	s_waitcnt vmcnt(2)
	v_mul_f64 v[29:30], v[6:7], v[87:88]
	v_mul_f64 v[31:32], v[4:5], v[87:88]
	v_add_f64 v[50:51], v[44:45], -v[50:51]
	v_fma_f64 v[67:68], v[17:18], v[73:74], v[9:10]
	v_fma_f64 v[69:70], v[19:20], v[73:74], -v[11:12]
	ds_read_b128 v[9:12], v60 offset:52992
	ds_read_b128 v[13:16], v60
	v_fma_f64 v[73:74], v[25:26], v[77:78], v[21:22]
	v_add_f64 v[19:20], v[54:55], -v[105:106]
	v_fma_f64 v[75:76], v[27:28], v[77:78], -v[23:24]
	v_add_f64 v[23:24], v[101:102], -v[111:112]
	s_waitcnt lgkmcnt(0)
	v_add_f64 v[25:26], v[13:14], -v[103:104]
	v_add_f64 v[27:28], v[15:16], -v[107:108]
	v_fma_f64 v[77:78], v[4:5], v[85:86], v[29:30]
	v_fma_f64 v[79:80], v[6:7], v[85:86], -v[31:32]
	s_waitcnt vmcnt(1)
	v_mul_f64 v[4:5], v[36:37], v[91:92]
	s_waitcnt vmcnt(0)
	v_mul_f64 v[17:18], v[11:12], v[95:96]
	v_mul_f64 v[6:7], v[34:35], v[91:92]
	v_fma_f64 v[29:30], v[13:14], 2.0, -v[25:26]
	v_fma_f64 v[13:14], v[54:55], 2.0, -v[19:20]
	v_mul_f64 v[21:22], v[9:10], v[95:96]
	v_fma_f64 v[31:32], v[15:16], 2.0, -v[27:28]
	v_add_f64 v[19:20], v[27:28], -v[19:20]
	v_fma_f64 v[54:55], v[34:35], v[89:90], v[4:5]
	v_fma_f64 v[87:88], v[9:10], v[93:94], v[17:18]
	v_fma_f64 v[17:18], v[101:102], 2.0, -v[23:24]
	v_fma_f64 v[85:86], v[36:37], v[89:90], -v[6:7]
	ds_read_b128 v[4:7], v60 offset:2304
	v_add_f64 v[9:10], v[29:30], -v[13:14]
	ds_read_b128 v[13:16], v60 offset:4608
	v_fma_f64 v[89:90], v[11:12], v[93:94], -v[21:22]
	v_fma_f64 v[33:34], v[97:98], 2.0, -v[46:47]
	s_waitcnt lgkmcnt(1)
	v_add_f64 v[40:41], v[4:5], -v[81:82]
	v_add_f64 v[81:82], v[6:7], -v[83:84]
	;; [unrolled: 1-line block ×3, first 2 shown]
	v_add_f64 v[17:18], v[25:26], v[23:24]
	v_fma_f64 v[35:36], v[99:100], 2.0, -v[48:49]
	v_fma_f64 v[21:22], v[29:30], 2.0, -v[9:10]
	;; [unrolled: 1-line block ×7, first 2 shown]
	ds_read_b128 v[25:28], v60 offset:6912
	ds_read_b128 v[29:32], v60 offset:9216
	s_waitcnt lgkmcnt(0)
	s_barrier
	v_add_f64 v[33:34], v[83:84], -v[33:34]
	v_add_f64 v[35:36], v[91:92], -v[35:36]
	ds_write_b128 v60, v[21:24]
	ds_write_b128 v60, v[4:7] offset:13824
	v_add_f64 v[4:5], v[40:41], v[48:49]
	v_add_f64 v[6:7], v[81:82], -v[46:47]
	v_add_f64 v[46:47], v[13:14], -v[52:53]
	;; [unrolled: 1-line block ×4, first 2 shown]
	v_fma_f64 v[21:22], v[83:84], 2.0, -v[33:34]
	v_fma_f64 v[23:24], v[91:92], 2.0, -v[35:36]
	ds_write_b128 v60, v[9:12] offset:27648
	ds_write_b128 v60, v[17:20] offset:41472
	v_fma_f64 v[37:38], v[40:41], 2.0, -v[4:5]
	v_fma_f64 v[39:40], v[81:82], 2.0, -v[6:7]
	;; [unrolled: 1-line block ×6, first 2 shown]
	ds_write_b128 v60, v[21:24] offset:2304
	ds_write_b128 v60, v[37:40] offset:16128
	v_add_f64 v[37:38], v[25:26], -v[71:72]
	v_add_f64 v[39:40], v[27:28], -v[61:62]
	;; [unrolled: 1-line block ×5, first 2 shown]
	v_add_f64 v[13:14], v[46:47], v[42:43]
	v_add_f64 v[15:16], v[48:49], -v[52:53]
	ds_write_b128 v60, v[33:36] offset:29952
	ds_write_b128 v60, v[4:7] offset:43776
	v_fma_f64 v[41:42], v[25:26], 2.0, -v[37:38]
	v_fma_f64 v[52:53], v[27:28], 2.0, -v[39:40]
	;; [unrolled: 1-line block ×8, first 2 shown]
	ds_write_b128 v60, v[17:20] offset:4608
	ds_write_b128 v60, v[21:24] offset:18432
	;; [unrolled: 1-line block ×4, first 2 shown]
	v_add_f64 v[4:5], v[41:42], -v[25:26]
	v_add_f64 v[6:7], v[52:53], -v[27:28]
	v_add_f64 v[25:26], v[37:38], v[50:51]
	v_add_f64 v[27:28], v[39:40], -v[61:62]
	v_add_f64 v[33:34], v[29:30], -v[67:68]
	;; [unrolled: 1-line block ×7, first 2 shown]
	v_fma_f64 v[13:14], v[37:38], 2.0, -v[25:26]
	v_fma_f64 v[15:16], v[39:40], 2.0, -v[27:28]
	v_add_f64 v[37:38], v[0:1], -v[54:55]
	v_add_f64 v[39:40], v[2:3], -v[85:86]
	v_fma_f64 v[9:10], v[41:42], 2.0, -v[4:5]
	v_fma_f64 v[29:30], v[29:30], 2.0, -v[33:34]
	;; [unrolled: 1-line block ×10, first 2 shown]
	ds_write_b128 v60, v[9:12] offset:6912
	ds_write_b128 v60, v[13:16] offset:20736
	v_add_f64 v[0:1], v[29:30], -v[41:42]
	v_add_f64 v[2:3], v[31:32], -v[43:44]
	v_add_f64 v[9:10], v[33:34], v[19:20]
	v_add_f64 v[11:12], v[35:36], -v[17:18]
	v_add_f64 v[13:14], v[45:46], -v[49:50]
	;; [unrolled: 1-line block ×3, first 2 shown]
	v_add_f64 v[17:18], v[37:38], v[23:24]
	v_add_f64 v[19:20], v[39:40], -v[21:22]
	v_fma_f64 v[21:22], v[29:30], 2.0, -v[0:1]
	v_fma_f64 v[23:24], v[31:32], 2.0, -v[2:3]
	;; [unrolled: 1-line block ×8, first 2 shown]
	ds_write_b128 v60, v[4:7] offset:34560
	ds_write_b128 v60, v[25:28] offset:48384
	;; [unrolled: 1-line block ×10, first 2 shown]
	s_waitcnt lgkmcnt(0)
	s_barrier
	s_and_saveexec_b64 s[4:5], s[0:1]
	s_cbranch_execz .LBB0_19
; %bb.18:
	v_lshl_add_u32 v6, v56, 4, 0
	v_mov_b32_e32 v57, v8
	ds_read_b128 v[0:3], v6
	ds_read_b128 v[9:12], v6 offset:52992
	v_mov_b32_e32 v4, s3
	v_add_co_u32_e32 v17, vcc, s2, v58
	v_addc_co_u32_e32 v18, vcc, v4, v59, vcc
	v_lshlrev_b64 v[4:5], 4, v[56:57]
	v_add_u32_e32 v7, 0x90, v56
	v_add_co_u32_e32 v4, vcc, v17, v4
	v_addc_co_u32_e32 v5, vcc, v18, v5, vcc
	s_waitcnt lgkmcnt(1)
	global_store_dwordx4 v[4:5], v[0:3], off
	ds_read_b128 v[0:3], v6 offset:2304
	ds_read_b128 v[13:16], v6 offset:4608
	v_lshlrev_b64 v[4:5], 4, v[7:8]
	v_add_u32_e32 v7, 0x120, v56
	v_add_co_u32_e32 v4, vcc, v17, v4
	v_addc_co_u32_e32 v5, vcc, v18, v5, vcc
	s_waitcnt lgkmcnt(1)
	global_store_dwordx4 v[4:5], v[0:3], off
	s_nop 0
	v_lshlrev_b64 v[0:1], 4, v[7:8]
	v_add_u32_e32 v7, 0x1b0, v56
	v_add_co_u32_e32 v0, vcc, v17, v0
	v_addc_co_u32_e32 v1, vcc, v18, v1, vcc
	s_waitcnt lgkmcnt(0)
	global_store_dwordx4 v[0:1], v[13:16], off
	ds_read_b128 v[0:3], v6 offset:6912
	ds_read_b128 v[13:16], v6 offset:9216
	v_lshlrev_b64 v[4:5], 4, v[7:8]
	v_add_u32_e32 v7, 0x240, v56
	v_add_co_u32_e32 v4, vcc, v17, v4
	v_addc_co_u32_e32 v5, vcc, v18, v5, vcc
	s_waitcnt lgkmcnt(1)
	global_store_dwordx4 v[4:5], v[0:3], off
	s_nop 0
	v_lshlrev_b64 v[0:1], 4, v[7:8]
	v_add_u32_e32 v7, 0x2d0, v56
	v_add_co_u32_e32 v0, vcc, v17, v0
	v_addc_co_u32_e32 v1, vcc, v18, v1, vcc
	s_waitcnt lgkmcnt(0)
	global_store_dwordx4 v[0:1], v[13:16], off
	ds_read_b128 v[0:3], v6 offset:11520
	ds_read_b128 v[13:16], v6 offset:13824
	v_lshlrev_b64 v[4:5], 4, v[7:8]
	v_add_u32_e32 v7, 0x360, v56
	v_add_co_u32_e32 v4, vcc, v17, v4
	v_addc_co_u32_e32 v5, vcc, v18, v5, vcc
	s_waitcnt lgkmcnt(1)
	global_store_dwordx4 v[4:5], v[0:3], off
	s_nop 0
	v_lshlrev_b64 v[0:1], 4, v[7:8]
	v_add_u32_e32 v7, 0x3f0, v56
	v_add_co_u32_e32 v0, vcc, v17, v0
	v_addc_co_u32_e32 v1, vcc, v18, v1, vcc
	s_waitcnt lgkmcnt(0)
	global_store_dwordx4 v[0:1], v[13:16], off
	ds_read_b128 v[0:3], v6 offset:16128
	ds_read_b128 v[13:16], v6 offset:18432
	v_lshlrev_b64 v[4:5], 4, v[7:8]
	v_add_u32_e32 v7, 0x480, v56
	v_add_co_u32_e32 v4, vcc, v17, v4
	v_addc_co_u32_e32 v5, vcc, v18, v5, vcc
	s_waitcnt lgkmcnt(1)
	global_store_dwordx4 v[4:5], v[0:3], off
	s_nop 0
	v_lshlrev_b64 v[0:1], 4, v[7:8]
	v_add_u32_e32 v7, 0x510, v56
	v_add_co_u32_e32 v0, vcc, v17, v0
	v_addc_co_u32_e32 v1, vcc, v18, v1, vcc
	s_waitcnt lgkmcnt(0)
	global_store_dwordx4 v[0:1], v[13:16], off
	ds_read_b128 v[0:3], v6 offset:20736
	ds_read_b128 v[13:16], v6 offset:23040
	v_lshlrev_b64 v[4:5], 4, v[7:8]
	v_add_u32_e32 v7, 0x5a0, v56
	v_add_co_u32_e32 v4, vcc, v17, v4
	v_addc_co_u32_e32 v5, vcc, v18, v5, vcc
	s_waitcnt lgkmcnt(1)
	global_store_dwordx4 v[4:5], v[0:3], off
	s_nop 0
	v_lshlrev_b64 v[0:1], 4, v[7:8]
	v_add_u32_e32 v7, 0x630, v56
	v_add_co_u32_e32 v0, vcc, v17, v0
	v_addc_co_u32_e32 v1, vcc, v18, v1, vcc
	s_waitcnt lgkmcnt(0)
	global_store_dwordx4 v[0:1], v[13:16], off
	ds_read_b128 v[0:3], v6 offset:25344
	ds_read_b128 v[13:16], v6 offset:27648
	v_lshlrev_b64 v[4:5], 4, v[7:8]
	v_add_u32_e32 v7, 0x6c0, v56
	v_add_co_u32_e32 v4, vcc, v17, v4
	v_addc_co_u32_e32 v5, vcc, v18, v5, vcc
	s_waitcnt lgkmcnt(1)
	global_store_dwordx4 v[4:5], v[0:3], off
	s_nop 0
	v_lshlrev_b64 v[0:1], 4, v[7:8]
	v_add_u32_e32 v7, 0x750, v56
	v_add_co_u32_e32 v0, vcc, v17, v0
	v_addc_co_u32_e32 v1, vcc, v18, v1, vcc
	s_waitcnt lgkmcnt(0)
	global_store_dwordx4 v[0:1], v[13:16], off
	ds_read_b128 v[0:3], v6 offset:29952
	ds_read_b128 v[13:16], v6 offset:32256
	v_lshlrev_b64 v[4:5], 4, v[7:8]
	v_add_u32_e32 v7, 0x7e0, v56
	v_add_co_u32_e32 v4, vcc, v17, v4
	v_addc_co_u32_e32 v5, vcc, v18, v5, vcc
	s_waitcnt lgkmcnt(1)
	global_store_dwordx4 v[4:5], v[0:3], off
	s_nop 0
	v_lshlrev_b64 v[0:1], 4, v[7:8]
	v_add_u32_e32 v7, 0x870, v56
	v_add_co_u32_e32 v0, vcc, v17, v0
	v_addc_co_u32_e32 v1, vcc, v18, v1, vcc
	s_waitcnt lgkmcnt(0)
	global_store_dwordx4 v[0:1], v[13:16], off
	ds_read_b128 v[0:3], v6 offset:34560
	ds_read_b128 v[13:16], v6 offset:36864
	v_lshlrev_b64 v[4:5], 4, v[7:8]
	v_add_u32_e32 v7, 0x900, v56
	v_add_co_u32_e32 v4, vcc, v17, v4
	v_addc_co_u32_e32 v5, vcc, v18, v5, vcc
	s_waitcnt lgkmcnt(1)
	global_store_dwordx4 v[4:5], v[0:3], off
	s_nop 0
	v_lshlrev_b64 v[0:1], 4, v[7:8]
	v_add_u32_e32 v7, 0x990, v56
	v_add_co_u32_e32 v0, vcc, v17, v0
	v_addc_co_u32_e32 v1, vcc, v18, v1, vcc
	s_waitcnt lgkmcnt(0)
	global_store_dwordx4 v[0:1], v[13:16], off
	ds_read_b128 v[0:3], v6 offset:39168
	ds_read_b128 v[13:16], v6 offset:41472
	v_lshlrev_b64 v[4:5], 4, v[7:8]
	v_add_u32_e32 v7, 0xa20, v56
	v_add_co_u32_e32 v4, vcc, v17, v4
	v_addc_co_u32_e32 v5, vcc, v18, v5, vcc
	s_waitcnt lgkmcnt(1)
	global_store_dwordx4 v[4:5], v[0:3], off
	s_nop 0
	v_lshlrev_b64 v[0:1], 4, v[7:8]
	v_add_u32_e32 v7, 0xab0, v56
	v_add_co_u32_e32 v0, vcc, v17, v0
	v_addc_co_u32_e32 v1, vcc, v18, v1, vcc
	s_waitcnt lgkmcnt(0)
	global_store_dwordx4 v[0:1], v[13:16], off
	ds_read_b128 v[0:3], v6 offset:43776
	ds_read_b128 v[13:16], v6 offset:46080
	v_lshlrev_b64 v[4:5], 4, v[7:8]
	v_add_u32_e32 v7, 0xb40, v56
	v_add_co_u32_e32 v4, vcc, v17, v4
	v_addc_co_u32_e32 v5, vcc, v18, v5, vcc
	s_waitcnt lgkmcnt(1)
	global_store_dwordx4 v[4:5], v[0:3], off
	s_nop 0
	v_lshlrev_b64 v[0:1], 4, v[7:8]
	v_add_u32_e32 v7, 0xbd0, v56
	v_add_co_u32_e32 v0, vcc, v17, v0
	v_addc_co_u32_e32 v1, vcc, v18, v1, vcc
	s_waitcnt lgkmcnt(0)
	global_store_dwordx4 v[0:1], v[13:16], off
	ds_read_b128 v[0:3], v6 offset:48384
	ds_read_b128 v[13:16], v6 offset:50688
	v_lshlrev_b64 v[4:5], 4, v[7:8]
	v_add_u32_e32 v7, 0xc60, v56
	v_add_co_u32_e32 v4, vcc, v17, v4
	v_addc_co_u32_e32 v5, vcc, v18, v5, vcc
	s_waitcnt lgkmcnt(1)
	global_store_dwordx4 v[4:5], v[0:3], off
	s_nop 0
	v_lshlrev_b64 v[0:1], 4, v[7:8]
	v_add_u32_e32 v7, 0xcf0, v56
	v_add_co_u32_e32 v0, vcc, v17, v0
	v_addc_co_u32_e32 v1, vcc, v18, v1, vcc
	s_waitcnt lgkmcnt(0)
	global_store_dwordx4 v[0:1], v[13:16], off
	v_lshlrev_b64 v[0:1], 4, v[7:8]
	v_add_co_u32_e32 v0, vcc, v17, v0
	v_addc_co_u32_e32 v1, vcc, v18, v1, vcc
	global_store_dwordx4 v[0:1], v[9:12], off
.LBB0_19:
	s_endpgm
	.section	.rodata,"a",@progbits
	.p2align	6, 0x0
	.amdhsa_kernel fft_rtc_back_len3456_factors_6_6_6_4_4_wgs_144_tpt_144_halfLds_dp_ip_CI_unitstride_sbrr_C2R_dirReg
		.amdhsa_group_segment_fixed_size 0
		.amdhsa_private_segment_fixed_size 0
		.amdhsa_kernarg_size 88
		.amdhsa_user_sgpr_count 6
		.amdhsa_user_sgpr_private_segment_buffer 1
		.amdhsa_user_sgpr_dispatch_ptr 0
		.amdhsa_user_sgpr_queue_ptr 0
		.amdhsa_user_sgpr_kernarg_segment_ptr 1
		.amdhsa_user_sgpr_dispatch_id 0
		.amdhsa_user_sgpr_flat_scratch_init 0
		.amdhsa_user_sgpr_private_segment_size 0
		.amdhsa_uses_dynamic_stack 0
		.amdhsa_system_sgpr_private_segment_wavefront_offset 0
		.amdhsa_system_sgpr_workgroup_id_x 1
		.amdhsa_system_sgpr_workgroup_id_y 0
		.amdhsa_system_sgpr_workgroup_id_z 0
		.amdhsa_system_sgpr_workgroup_info 0
		.amdhsa_system_vgpr_workitem_id 0
		.amdhsa_next_free_vgpr 134
		.amdhsa_next_free_sgpr 22
		.amdhsa_reserve_vcc 1
		.amdhsa_reserve_flat_scratch 0
		.amdhsa_float_round_mode_32 0
		.amdhsa_float_round_mode_16_64 0
		.amdhsa_float_denorm_mode_32 3
		.amdhsa_float_denorm_mode_16_64 3
		.amdhsa_dx10_clamp 1
		.amdhsa_ieee_mode 1
		.amdhsa_fp16_overflow 0
		.amdhsa_exception_fp_ieee_invalid_op 0
		.amdhsa_exception_fp_denorm_src 0
		.amdhsa_exception_fp_ieee_div_zero 0
		.amdhsa_exception_fp_ieee_overflow 0
		.amdhsa_exception_fp_ieee_underflow 0
		.amdhsa_exception_fp_ieee_inexact 0
		.amdhsa_exception_int_div_zero 0
	.end_amdhsa_kernel
	.text
.Lfunc_end0:
	.size	fft_rtc_back_len3456_factors_6_6_6_4_4_wgs_144_tpt_144_halfLds_dp_ip_CI_unitstride_sbrr_C2R_dirReg, .Lfunc_end0-fft_rtc_back_len3456_factors_6_6_6_4_4_wgs_144_tpt_144_halfLds_dp_ip_CI_unitstride_sbrr_C2R_dirReg
                                        ; -- End function
	.section	.AMDGPU.csdata,"",@progbits
; Kernel info:
; codeLenInByte = 17496
; NumSgprs: 26
; NumVgprs: 134
; ScratchSize: 0
; MemoryBound: 0
; FloatMode: 240
; IeeeMode: 1
; LDSByteSize: 0 bytes/workgroup (compile time only)
; SGPRBlocks: 3
; VGPRBlocks: 33
; NumSGPRsForWavesPerEU: 26
; NumVGPRsForWavesPerEU: 134
; Occupancy: 1
; WaveLimiterHint : 1
; COMPUTE_PGM_RSRC2:SCRATCH_EN: 0
; COMPUTE_PGM_RSRC2:USER_SGPR: 6
; COMPUTE_PGM_RSRC2:TRAP_HANDLER: 0
; COMPUTE_PGM_RSRC2:TGID_X_EN: 1
; COMPUTE_PGM_RSRC2:TGID_Y_EN: 0
; COMPUTE_PGM_RSRC2:TGID_Z_EN: 0
; COMPUTE_PGM_RSRC2:TIDIG_COMP_CNT: 0
	.type	__hip_cuid_a124e2a92e8fe8f7,@object ; @__hip_cuid_a124e2a92e8fe8f7
	.section	.bss,"aw",@nobits
	.globl	__hip_cuid_a124e2a92e8fe8f7
__hip_cuid_a124e2a92e8fe8f7:
	.byte	0                               ; 0x0
	.size	__hip_cuid_a124e2a92e8fe8f7, 1

	.ident	"AMD clang version 19.0.0git (https://github.com/RadeonOpenCompute/llvm-project roc-6.4.0 25133 c7fe45cf4b819c5991fe208aaa96edf142730f1d)"
	.section	".note.GNU-stack","",@progbits
	.addrsig
	.addrsig_sym __hip_cuid_a124e2a92e8fe8f7
	.amdgpu_metadata
---
amdhsa.kernels:
  - .args:
      - .actual_access:  read_only
        .address_space:  global
        .offset:         0
        .size:           8
        .value_kind:     global_buffer
      - .offset:         8
        .size:           8
        .value_kind:     by_value
      - .actual_access:  read_only
        .address_space:  global
        .offset:         16
        .size:           8
        .value_kind:     global_buffer
      - .actual_access:  read_only
        .address_space:  global
        .offset:         24
        .size:           8
        .value_kind:     global_buffer
      - .offset:         32
        .size:           8
        .value_kind:     by_value
      - .actual_access:  read_only
        .address_space:  global
        .offset:         40
        .size:           8
        .value_kind:     global_buffer
      - .actual_access:  read_only
        .address_space:  global
        .offset:         48
        .size:           8
        .value_kind:     global_buffer
      - .offset:         56
        .size:           4
        .value_kind:     by_value
      - .actual_access:  read_only
        .address_space:  global
        .offset:         64
        .size:           8
        .value_kind:     global_buffer
      - .actual_access:  read_only
        .address_space:  global
        .offset:         72
        .size:           8
        .value_kind:     global_buffer
      - .address_space:  global
        .offset:         80
        .size:           8
        .value_kind:     global_buffer
    .group_segment_fixed_size: 0
    .kernarg_segment_align: 8
    .kernarg_segment_size: 88
    .language:       OpenCL C
    .language_version:
      - 2
      - 0
    .max_flat_workgroup_size: 144
    .name:           fft_rtc_back_len3456_factors_6_6_6_4_4_wgs_144_tpt_144_halfLds_dp_ip_CI_unitstride_sbrr_C2R_dirReg
    .private_segment_fixed_size: 0
    .sgpr_count:     26
    .sgpr_spill_count: 0
    .symbol:         fft_rtc_back_len3456_factors_6_6_6_4_4_wgs_144_tpt_144_halfLds_dp_ip_CI_unitstride_sbrr_C2R_dirReg.kd
    .uniform_work_group_size: 1
    .uses_dynamic_stack: false
    .vgpr_count:     134
    .vgpr_spill_count: 0
    .wavefront_size: 64
amdhsa.target:   amdgcn-amd-amdhsa--gfx906
amdhsa.version:
  - 1
  - 2
...

	.end_amdgpu_metadata
